;; amdgpu-corpus repo=ROCm/rocFFT kind=compiled arch=gfx950 opt=O3
	.text
	.amdgcn_target "amdgcn-amd-amdhsa--gfx950"
	.amdhsa_code_object_version 6
	.protected	bluestein_single_back_len672_dim1_half_op_CI_CI ; -- Begin function bluestein_single_back_len672_dim1_half_op_CI_CI
	.globl	bluestein_single_back_len672_dim1_half_op_CI_CI
	.p2align	8
	.type	bluestein_single_back_len672_dim1_half_op_CI_CI,@function
bluestein_single_back_len672_dim1_half_op_CI_CI: ; @bluestein_single_back_len672_dim1_half_op_CI_CI
; %bb.0:
	s_load_dwordx4 s[12:15], s[0:1], 0x28
	v_mul_u32_u24_e32 v1, 0x493, v0
	v_mov_b32_e32 v11, 0
	v_add_u32_sdwa v12, s2, v1 dst_sel:DWORD dst_unused:UNUSED_PAD src0_sel:DWORD src1_sel:WORD_1
	v_mov_b32_e32 v13, v11
	s_waitcnt lgkmcnt(0)
	v_cmp_gt_u64_e32 vcc, s[12:13], v[12:13]
	s_and_saveexec_b64 s[2:3], vcc
	s_cbranch_execz .LBB0_10
; %bb.1:
	s_load_dwordx4 s[4:7], s[0:1], 0x18
	s_load_dwordx4 s[8:11], s[0:1], 0x0
	v_mov_b32_e32 v2, s14
	v_mov_b32_e32 v3, s15
	;; [unrolled: 1-line block ×3, first 2 shown]
	s_waitcnt lgkmcnt(0)
	s_load_dwordx4 s[12:15], s[4:5], 0x0
	v_mul_lo_u16_sdwa v1, v1, v4 dst_sel:DWORD dst_unused:UNUSED_PAD src0_sel:WORD_1 src1_sel:DWORD
	v_sub_u16_e32 v10, v0, v1
	v_lshlrev_b32_e32 v8, 2, v10
	v_mov_b32_e32 v13, 0x540
	s_waitcnt lgkmcnt(0)
	v_mad_u64_u32 v[0:1], s[2:3], s14, v12, 0
	v_mov_b32_e32 v4, v1
	v_mad_u64_u32 v[4:5], s[2:3], s15, v12, v[4:5]
	v_mov_b32_e32 v1, v4
	v_mad_u64_u32 v[4:5], s[2:3], s12, v10, 0
	v_mov_b32_e32 v6, v5
	v_mad_u64_u32 v[6:7], s[2:3], s13, v10, v[6:7]
	v_mov_b32_e32 v5, v6
	v_lshl_add_u64 v[0:1], v[0:1], 2, v[2:3]
	v_lshl_add_u64 v[2:3], v[4:5], 2, v[0:1]
	global_load_dword v9, v[2:3], off
	global_load_dword v51, v8, s[8:9]
	v_mad_u64_u32 v[2:3], s[2:3], s12, v13, v[2:3]
	s_mul_i32 s4, s13, 0x540
	v_add_u32_e32 v3, s4, v3
	global_load_dword v50, v8, s[8:9] offset:1344
	global_load_dword v14, v[2:3], off
	v_mov_b32_e32 v15, 0xfffffba0
	v_mad_u64_u32 v[2:3], s[2:3], s12, v15, v[2:3]
	s_mul_i32 s2, s13, 0xfffffba0
	s_sub_i32 s5, s2, s12
	v_add_u32_e32 v3, s5, v3
	global_load_dword v16, v[2:3], off
	global_load_dword v49, v8, s[8:9] offset:224
	v_mad_u64_u32 v[2:3], s[2:3], s12, v13, v[2:3]
	v_add_u32_e32 v3, s4, v3
	global_load_dword v17, v[2:3], off
	global_load_dword v48, v8, s[8:9] offset:1568
	v_or_b32_e32 v45, 0x1c0, v10
	v_mad_u64_u32 v[4:5], s[2:3], s12, v15, v[2:3]
	v_mad_u64_u32 v[2:3], s[2:3], s12, v45, 0
	v_add_u32_e32 v5, s5, v5
	v_mov_b32_e32 v6, v3
	global_load_dword v18, v[4:5], off
	global_load_dword v47, v8, s[8:9] offset:448
	v_mad_u64_u32 v[6:7], s[2:3], s13, v45, v[6:7]
	v_mov_b32_e32 v3, v6
	v_lshl_add_u64 v[0:1], v[2:3], 2, v[0:1]
	global_load_dword v2, v[0:1], off
	global_load_dword v46, v8, s[8:9] offset:1792
	v_mov_b32_e32 v0, 0xe0
	v_mad_u64_u32 v[0:1], s[2:3], s12, v0, v[4:5]
	s_mul_i32 s2, s13, 0xe0
	s_nop 0
	v_add_u32_e32 v1, s2, v1
	global_load_dword v3, v[0:1], off
	global_load_dword v44, v8, s[8:9] offset:672
	v_mad_u64_u32 v[0:1], s[2:3], s12, v13, v[0:1]
	v_add_u32_e32 v1, s4, v1
	global_load_dword v4, v[0:1], off
	global_load_dword v43, v8, s[8:9] offset:2016
	v_mad_u64_u32 v[0:1], s[2:3], s12, v15, v[0:1]
	;; [unrolled: 4-line block ×5, first 2 shown]
	v_add_u32_e32 v1, s4, v1
	global_load_dword v15, v[0:1], off
	global_load_dword v13, v8, s[8:9] offset:2464
	v_add_u32_e32 v72, 0x400, v8
	v_add_u32_e32 v77, 0x200, v8
	s_load_dwordx4 s[4:7], s[6:7], 0x0
	v_lshlrev_b32_e32 v52, 3, v10
	s_movk_i32 s2, 0x7c
	v_add_u32_e32 v94, 0x70, v10
	v_add_u32_e32 v95, 0xa8, v10
	;; [unrolled: 1-line block ×3, first 2 shown]
	s_mov_b32 s3, 0xbaee
	s_load_dwordx2 s[0:1], s[0:1], 0x38
	v_cmp_gt_u16_e32 vcc, 40, v10
                                        ; implicit-def: $vgpr103
                                        ; implicit-def: $vgpr104
	s_waitcnt vmcnt(23)
	v_lshrrev_b32_e32 v0, 16, v9
	s_waitcnt vmcnt(22)
	v_mul_f16_sdwa v1, v51, v9 dst_sel:DWORD dst_unused:UNUSED_PAD src0_sel:WORD_1 src1_sel:DWORD
	v_mul_f16_sdwa v19, v51, v0 dst_sel:DWORD dst_unused:UNUSED_PAD src0_sel:WORD_1 src1_sel:DWORD
	v_fma_f16 v0, v51, v0, -v1
	v_fma_f16 v1, v51, v9, v19
	v_pack_b32_f16 v0, v1, v0
	s_waitcnt vmcnt(20)
	v_lshrrev_b32_e32 v9, 16, v14
	v_mul_f16_sdwa v1, v50, v9 dst_sel:DWORD dst_unused:UNUSED_PAD src0_sel:WORD_1 src1_sel:DWORD
	v_fma_f16 v1, v50, v14, v1
	v_mul_f16_sdwa v14, v50, v14 dst_sel:DWORD dst_unused:UNUSED_PAD src0_sel:WORD_1 src1_sel:DWORD
	v_fma_f16 v9, v50, v9, -v14
	v_pack_b32_f16 v1, v1, v9
	ds_write_b32 v8, v1 offset:1344
	s_waitcnt vmcnt(19)
	v_lshrrev_b32_e32 v1, 16, v16
	s_waitcnt vmcnt(18)
	v_mul_f16_sdwa v9, v49, v1 dst_sel:DWORD dst_unused:UNUSED_PAD src0_sel:WORD_1 src1_sel:DWORD
	v_mul_f16_sdwa v14, v49, v16 dst_sel:DWORD dst_unused:UNUSED_PAD src0_sel:WORD_1 src1_sel:DWORD
	v_fma_f16 v9, v49, v16, v9
	v_fma_f16 v1, v49, v1, -v14
	v_pack_b32_f16 v1, v9, v1
	ds_write2_b32 v8, v0, v1 offset1:56
	s_waitcnt vmcnt(17)
	v_lshrrev_b32_e32 v0, 16, v17
	s_waitcnt vmcnt(16)
	v_mul_f16_sdwa v1, v48, v0 dst_sel:DWORD dst_unused:UNUSED_PAD src0_sel:WORD_1 src1_sel:DWORD
	v_mul_f16_sdwa v9, v48, v17 dst_sel:DWORD dst_unused:UNUSED_PAD src0_sel:WORD_1 src1_sel:DWORD
	v_fma_f16 v1, v48, v17, v1
	v_fma_f16 v0, v48, v0, -v9
	v_pack_b32_f16 v0, v1, v0
	s_waitcnt vmcnt(15)
	v_lshrrev_b32_e32 v1, 16, v18
	s_waitcnt vmcnt(14)
	v_mul_f16_sdwa v9, v47, v1 dst_sel:DWORD dst_unused:UNUSED_PAD src0_sel:WORD_1 src1_sel:DWORD
	v_mul_f16_sdwa v14, v47, v18 dst_sel:DWORD dst_unused:UNUSED_PAD src0_sel:WORD_1 src1_sel:DWORD
	v_fma_f16 v9, v47, v18, v9
	v_fma_f16 v1, v47, v1, -v14
	v_pack_b32_f16 v1, v9, v1
	s_waitcnt vmcnt(13)
	v_lshrrev_b32_e32 v9, 16, v2
	s_waitcnt vmcnt(12)
	v_mul_f16_sdwa v14, v46, v9 dst_sel:DWORD dst_unused:UNUSED_PAD src0_sel:WORD_1 src1_sel:DWORD
	v_fma_f16 v14, v46, v2, v14
	v_mul_f16_sdwa v2, v46, v2 dst_sel:DWORD dst_unused:UNUSED_PAD src0_sel:WORD_1 src1_sel:DWORD
	v_fma_f16 v2, v46, v9, -v2
	v_pack_b32_f16 v2, v14, v2
	ds_write2_b32 v72, v0, v2 offset0:136 offset1:192
	s_waitcnt vmcnt(11)
	v_lshrrev_b32_e32 v0, 16, v3
	s_waitcnt vmcnt(10)
	v_mul_f16_sdwa v2, v44, v0 dst_sel:DWORD dst_unused:UNUSED_PAD src0_sel:WORD_1 src1_sel:DWORD
	v_fma_f16 v2, v44, v3, v2
	v_mul_f16_sdwa v3, v44, v3 dst_sel:DWORD dst_unused:UNUSED_PAD src0_sel:WORD_1 src1_sel:DWORD
	v_fma_f16 v0, v44, v0, -v3
	v_pack_b32_f16 v0, v2, v0
	ds_write2_b32 v8, v1, v0 offset0:112 offset1:168
	s_waitcnt vmcnt(9)
	v_lshrrev_b32_e32 v0, 16, v4
	s_waitcnt vmcnt(8)
	v_mul_f16_sdwa v1, v43, v0 dst_sel:DWORD dst_unused:UNUSED_PAD src0_sel:WORD_1 src1_sel:DWORD
	v_mul_f16_sdwa v2, v43, v4 dst_sel:DWORD dst_unused:UNUSED_PAD src0_sel:WORD_1 src1_sel:DWORD
	v_fma_f16 v1, v43, v4, v1
	v_fma_f16 v0, v43, v0, -v2
	v_pack_b32_f16 v0, v1, v0
	s_waitcnt vmcnt(7)
	v_lshrrev_b32_e32 v1, 16, v5
	s_waitcnt vmcnt(6)
	v_mul_f16_sdwa v2, v42, v1 dst_sel:DWORD dst_unused:UNUSED_PAD src0_sel:WORD_1 src1_sel:DWORD
	v_mul_f16_sdwa v3, v42, v5 dst_sel:DWORD dst_unused:UNUSED_PAD src0_sel:WORD_1 src1_sel:DWORD
	v_fma_f16 v2, v42, v5, v2
	v_fma_f16 v1, v42, v1, -v3
	v_pack_b32_f16 v1, v2, v1
	s_waitcnt vmcnt(5)
	v_lshrrev_b32_e32 v2, 16, v6
	s_waitcnt vmcnt(4)
	v_mul_f16_sdwa v3, v41, v2 dst_sel:DWORD dst_unused:UNUSED_PAD src0_sel:WORD_1 src1_sel:DWORD
	v_mul_f16_sdwa v4, v41, v6 dst_sel:DWORD dst_unused:UNUSED_PAD src0_sel:WORD_1 src1_sel:DWORD
	v_fma_f16 v3, v41, v6, v3
	v_fma_f16 v2, v41, v2, -v4
	v_pack_b32_f16 v3, v3, v2
	v_add_u32_e32 v2, 0x600, v8
	ds_write2_b32 v2, v0, v3 offset0:120 offset1:176
	s_waitcnt vmcnt(3)
	v_lshrrev_b32_e32 v0, 16, v7
	s_waitcnt vmcnt(2)
	v_mul_f16_sdwa v3, v40, v0 dst_sel:DWORD dst_unused:UNUSED_PAD src0_sel:WORD_1 src1_sel:DWORD
	v_mul_f16_sdwa v4, v40, v7 dst_sel:DWORD dst_unused:UNUSED_PAD src0_sel:WORD_1 src1_sel:DWORD
	v_fma_f16 v3, v40, v7, v3
	v_fma_f16 v0, v40, v0, -v4
	v_pack_b32_f16 v0, v3, v0
	ds_write2_b32 v77, v1, v0 offset0:96 offset1:152
	s_waitcnt vmcnt(1)
	v_lshrrev_b32_e32 v0, 16, v15
	s_waitcnt vmcnt(0)
	v_mul_f16_sdwa v1, v13, v0 dst_sel:DWORD dst_unused:UNUSED_PAD src0_sel:WORD_1 src1_sel:DWORD
	v_mul_f16_sdwa v3, v13, v15 dst_sel:DWORD dst_unused:UNUSED_PAD src0_sel:WORD_1 src1_sel:DWORD
	v_fma_f16 v1, v13, v15, v1
	v_fma_f16 v0, v13, v0, -v3
	v_pack_b32_f16 v0, v1, v0
	ds_write_b32 v8, v0 offset:2464
	v_lshl_add_u64 v[0:1], v[10:11], 0, 56
	s_waitcnt lgkmcnt(0)
	; wave barrier
	s_waitcnt lgkmcnt(0)
	ds_read2_b32 v[4:5], v8 offset1:56
	ds_read2_b32 v[6:7], v72 offset0:80 offset1:136
	ds_read2_b32 v[16:17], v8 offset0:112 offset1:168
	;; [unrolled: 1-line block ×3, first 2 shown]
	v_add_u32_e32 v1, 0x800, v8
	ds_read2_b32 v[20:21], v77 offset0:96 offset1:152
	ds_read2_b32 v[22:23], v1 offset0:48 offset1:104
	v_lshlrev_b32_e32 v3, 1, v10
	s_waitcnt lgkmcnt(4)
	v_pk_add_f16 v15, v4, v6 neg_lo:[0,1] neg_hi:[0,1]
	v_pk_add_f16 v7, v5, v7 neg_lo:[0,1] neg_hi:[0,1]
	s_waitcnt lgkmcnt(2)
	v_pk_add_f16 v19, v17, v19 neg_lo:[0,1] neg_hi:[0,1]
	v_pk_fma_f16 v14, v4, 2.0, v15 op_sel_hi:[1,0,1] neg_lo:[0,0,1] neg_hi:[0,0,1]
	v_pk_fma_f16 v6, v5, 2.0, v7 op_sel_hi:[1,0,1] neg_lo:[0,0,1] neg_hi:[0,0,1]
	v_pk_add_f16 v5, v16, v18 neg_lo:[0,1] neg_hi:[0,1]
	v_pk_fma_f16 v18, v17, 2.0, v19 op_sel_hi:[1,0,1] neg_lo:[0,0,1] neg_hi:[0,0,1]
	v_lshlrev_b32_e32 v9, 2, v3
	s_waitcnt lgkmcnt(0)
	v_pk_add_f16 v17, v20, v22 neg_lo:[0,1] neg_hi:[0,1]
	v_pk_add_f16 v23, v21, v23 neg_lo:[0,1] neg_hi:[0,1]
	v_lshlrev_b32_e32 v54, 3, v0
	v_pk_fma_f16 v4, v16, 2.0, v5 op_sel_hi:[1,0,1] neg_lo:[0,0,1] neg_hi:[0,0,1]
	v_pk_fma_f16 v16, v20, 2.0, v17 op_sel_hi:[1,0,1] neg_lo:[0,0,1] neg_hi:[0,0,1]
	;; [unrolled: 1-line block ×3, first 2 shown]
	s_waitcnt lgkmcnt(0)
	; wave barrier
	ds_write_b64 v52, v[14:15]
	ds_write_b64 v54, v[6:7]
	ds_write2_b64 v52, v[4:5], v[18:19] offset0:112 offset1:168
	ds_write_b64 v9, v[16:17] offset:1792
	ds_write_b64 v52, v[22:23] offset:2240
	v_and_b32_e32 v9, 1, v10
	v_lshlrev_b32_e32 v4, 2, v9
	s_waitcnt lgkmcnt(0)
	; wave barrier
	s_waitcnt lgkmcnt(0)
	global_load_dword v53, v4, s[10:11]
	ds_read2_b32 v[16:17], v72 offset0:80 offset1:136
	ds_read2_b32 v[14:15], v8 offset1:56
	ds_read2_b32 v[18:19], v8 offset0:112 offset1:168
	ds_read2_b32 v[20:21], v72 offset0:192 offset1:248
	;; [unrolled: 1-line block ×4, first 2 shown]
	v_lshlrev_b32_e32 v7, 1, v0
	s_waitcnt lgkmcnt(5)
	v_lshrrev_b32_e32 v27, 16, v16
	v_lshrrev_b32_e32 v29, 16, v17
	s_waitcnt lgkmcnt(2)
	v_lshrrev_b32_e32 v31, 16, v20
	v_lshrrev_b32_e32 v33, 16, v21
	;; [unrolled: 1-line block ×5, first 2 shown]
	v_lshlrev_b32_e32 v6, 1, v94
	s_waitcnt lgkmcnt(0)
	v_lshrrev_b32_e32 v35, 16, v24
	v_lshrrev_b32_e32 v32, 16, v19
	s_waitcnt lgkmcnt(0)
	; wave barrier
	v_lshlrev_b32_e32 v5, 1, v95
	v_add_u32_e32 v96, 0x1c0, v3
	v_lshlrev_b32_e32 v4, 1, v93
	s_waitcnt vmcnt(0)
	v_mul_f16_sdwa v34, v27, v53 dst_sel:DWORD dst_unused:UNUSED_PAD src0_sel:DWORD src1_sel:WORD_1
	v_fma_f16 v34, v16, v53, -v34
	v_mul_f16_sdwa v16, v16, v53 dst_sel:DWORD dst_unused:UNUSED_PAD src0_sel:DWORD src1_sel:WORD_1
	v_fma_f16 v16, v27, v53, v16
	v_mul_f16_sdwa v27, v29, v53 dst_sel:DWORD dst_unused:UNUSED_PAD src0_sel:DWORD src1_sel:WORD_1
	v_fma_f16 v27, v17, v53, -v27
	v_mul_f16_sdwa v17, v17, v53 dst_sel:DWORD dst_unused:UNUSED_PAD src0_sel:DWORD src1_sel:WORD_1
	v_fma_f16 v17, v29, v53, v17
	v_mul_f16_sdwa v29, v31, v53 dst_sel:DWORD dst_unused:UNUSED_PAD src0_sel:DWORD src1_sel:WORD_1
	v_fma_f16 v29, v20, v53, -v29
	v_mul_f16_sdwa v20, v20, v53 dst_sel:DWORD dst_unused:UNUSED_PAD src0_sel:DWORD src1_sel:WORD_1
	v_fma_f16 v20, v31, v53, v20
	v_mul_f16_sdwa v31, v33, v53 dst_sel:DWORD dst_unused:UNUSED_PAD src0_sel:DWORD src1_sel:WORD_1
	v_fma_f16 v31, v21, v53, -v31
	v_mul_f16_sdwa v21, v21, v53 dst_sel:DWORD dst_unused:UNUSED_PAD src0_sel:DWORD src1_sel:WORD_1
	v_fma_f16 v21, v33, v53, v21
	v_sub_f16_e32 v33, v14, v34
	v_sub_f16_e32 v16, v26, v16
	v_fma_f16 v14, v14, 2.0, -v33
	v_fma_f16 v26, v26, 2.0, -v16
	v_pack_b32_f16 v16, v33, v16
	v_and_or_b32 v33, v3, s2, v9
	v_sub_f16_e32 v27, v15, v27
	v_sub_f16_e32 v17, v28, v17
	s_movk_i32 s2, 0xfc
	v_fma_f16 v15, v15, 2.0, -v27
	v_fma_f16 v28, v28, 2.0, -v17
	v_and_or_b32 v34, v7, s2, v9
	v_pack_b32_f16 v14, v14, v26
	v_lshlrev_b32_e32 v55, 2, v33
	v_sub_f16_e32 v29, v18, v29
	v_sub_f16_e32 v20, v30, v20
	v_lshlrev_b32_e32 v57, 2, v34
	v_pack_b32_f16 v15, v15, v28
	v_pack_b32_f16 v17, v27, v17
	s_movk_i32 s2, 0x1fc
	v_lshrrev_b32_e32 v26, 16, v25
	ds_write2_b32 v55, v14, v16 offset1:2
	v_mul_f16_sdwa v14, v35, v53 dst_sel:DWORD dst_unused:UNUSED_PAD src0_sel:DWORD src1_sel:WORD_1
	v_fma_f16 v18, v18, 2.0, -v29
	v_fma_f16 v30, v30, 2.0, -v20
	ds_write2_b32 v57, v15, v17 offset1:2
	v_and_or_b32 v15, v6, s2, v9
	v_fma_f16 v14, v24, v53, -v14
	v_mul_f16_sdwa v16, v24, v53 dst_sel:DWORD dst_unused:UNUSED_PAD src0_sel:DWORD src1_sel:WORD_1
	v_mul_f16_sdwa v24, v26, v53 dst_sel:DWORD dst_unused:UNUSED_PAD src0_sel:DWORD src1_sel:WORD_1
	v_sub_f16_e32 v31, v19, v31
	v_sub_f16_e32 v21, v32, v21
	v_lshlrev_b32_e32 v58, 2, v15
	v_pack_b32_f16 v15, v18, v30
	v_pack_b32_f16 v17, v29, v20
	v_fma_f16 v16, v35, v53, v16
	v_fma_f16 v24, v25, v53, -v24
	v_mul_f16_sdwa v25, v25, v53 dst_sel:DWORD dst_unused:UNUSED_PAD src0_sel:DWORD src1_sel:WORD_1
	v_lshrrev_b32_e32 v33, 16, v22
	v_fma_f16 v19, v19, 2.0, -v31
	v_fma_f16 v32, v32, 2.0, -v21
	ds_write2_b32 v58, v15, v17 offset1:2
	v_and_or_b32 v15, v5, s2, v9
	v_fma_f16 v25, v26, v53, v25
	v_lshrrev_b32_e32 v26, 16, v23
	v_sub_f16_e32 v14, v22, v14
	v_sub_f16_e32 v16, v33, v16
	v_lshlrev_b32_e32 v59, 2, v15
	v_pack_b32_f16 v15, v19, v32
	v_pack_b32_f16 v17, v31, v21
	s_movk_i32 s2, 0x3fc
	v_fma_f16 v22, v22, 2.0, -v14
	v_fma_f16 v33, v33, 2.0, -v16
	v_sub_f16_e32 v24, v23, v24
	v_sub_f16_e32 v25, v26, v25
	ds_write2_b32 v59, v15, v17 offset1:2
	v_and_or_b32 v15, v96, s2, v9
	s_movk_i32 s2, 0x2fc
	v_fma_f16 v23, v23, 2.0, -v24
	v_fma_f16 v26, v26, 2.0, -v25
	v_lshlrev_b32_e32 v60, 2, v15
	v_pack_b32_f16 v15, v22, v33
	v_pack_b32_f16 v14, v14, v16
	v_and_or_b32 v9, v4, s2, v9
	ds_write2_b32 v60, v15, v14 offset1:2
	v_lshlrev_b32_e32 v61, 2, v9
	v_pack_b32_f16 v9, v23, v26
	v_pack_b32_f16 v14, v24, v25
	ds_write2_b32 v61, v9, v14 offset1:2
	v_and_b32_e32 v9, 3, v10
	v_lshlrev_b32_e32 v14, 2, v9
	s_waitcnt lgkmcnt(0)
	; wave barrier
	s_waitcnt lgkmcnt(0)
	global_load_dword v56, v14, s[10:11] offset:8
	ds_read2_b32 v[14:15], v8 offset1:56
	ds_read2_b32 v[16:17], v72 offset0:80 offset1:136
	s_movk_i32 s2, 0x78
	ds_read2_b32 v[18:19], v8 offset0:112 offset1:168
	ds_read2_b32 v[20:21], v72 offset0:192 offset1:248
	;; [unrolled: 1-line block ×3, first 2 shown]
	v_and_b32_e32 v28, 15, v95
	s_waitcnt lgkmcnt(4)
	v_lshrrev_b32_e32 v24, 16, v14
	s_waitcnt lgkmcnt(3)
	v_lshrrev_b32_e32 v25, 16, v16
	;; [unrolled: 2-line block ×3, first 2 shown]
	v_and_b32_e32 v32, 31, v95
	v_and_b32_e32 v33, 31, v0
	s_waitcnt vmcnt(0)
	v_mul_f16_sdwa v26, v25, v56 dst_sel:DWORD dst_unused:UNUSED_PAD src0_sel:DWORD src1_sel:WORD_1
	v_fma_f16 v26, v16, v56, -v26
	v_mul_f16_sdwa v16, v16, v56 dst_sel:DWORD dst_unused:UNUSED_PAD src0_sel:DWORD src1_sel:WORD_1
	v_fma_f16 v16, v25, v56, v16
	v_sub_f16_e32 v26, v14, v26
	v_sub_f16_e32 v16, v24, v16
	v_fma_f16 v14, v14, 2.0, -v26
	v_fma_f16 v24, v24, 2.0, -v16
	v_pack_b32_f16 v16, v26, v16
	v_and_or_b32 v26, v3, s2, v9
	v_pack_b32_f16 v14, v14, v24
	v_lshlrev_b32_e32 v62, 2, v26
	ds_read2_b32 v[24:25], v1 offset0:48 offset1:104
	s_waitcnt lgkmcnt(0)
	; wave barrier
	s_waitcnt lgkmcnt(0)
	ds_write2_b32 v62, v14, v16 offset1:4
	v_lshrrev_b32_e32 v14, 16, v17
	v_mul_f16_sdwa v16, v14, v56 dst_sel:DWORD dst_unused:UNUSED_PAD src0_sel:DWORD src1_sel:WORD_1
	v_fma_f16 v16, v17, v56, -v16
	v_mul_f16_sdwa v17, v17, v56 dst_sel:DWORD dst_unused:UNUSED_PAD src0_sel:DWORD src1_sel:WORD_1
	v_lshrrev_b32_e32 v26, 16, v15
	v_fma_f16 v14, v14, v56, v17
	v_sub_f16_e32 v16, v15, v16
	v_sub_f16_e32 v14, v26, v14
	s_movk_i32 s2, 0xf8
	v_fma_f16 v15, v15, 2.0, -v16
	v_fma_f16 v26, v26, 2.0, -v14
	v_pack_b32_f16 v14, v16, v14
	v_and_or_b32 v16, v7, s2, v9
	v_pack_b32_f16 v15, v15, v26
	v_lshlrev_b32_e32 v63, 2, v16
	ds_write2_b32 v63, v15, v14 offset1:4
	v_mul_f16_sdwa v14, v27, v56 dst_sel:DWORD dst_unused:UNUSED_PAD src0_sel:DWORD src1_sel:WORD_1
	v_mul_f16_sdwa v15, v20, v56 dst_sel:DWORD dst_unused:UNUSED_PAD src0_sel:DWORD src1_sel:WORD_1
	v_lshrrev_b32_e32 v17, 16, v18
	v_fma_f16 v14, v20, v56, -v14
	v_fma_f16 v15, v27, v56, v15
	v_lshrrev_b32_e32 v26, 16, v21
	v_sub_f16_e32 v14, v18, v14
	v_sub_f16_e32 v15, v17, v15
	s_movk_i32 s2, 0x1f8
	v_mul_f16_sdwa v16, v26, v56 dst_sel:DWORD dst_unused:UNUSED_PAD src0_sel:DWORD src1_sel:WORD_1
	v_fma_f16 v18, v18, 2.0, -v14
	v_fma_f16 v17, v17, 2.0, -v15
	v_pack_b32_f16 v14, v14, v15
	v_and_or_b32 v15, v6, s2, v9
	v_fma_f16 v16, v21, v56, -v16
	v_mul_f16_sdwa v20, v21, v56 dst_sel:DWORD dst_unused:UNUSED_PAD src0_sel:DWORD src1_sel:WORD_1
	v_lshrrev_b32_e32 v21, 16, v24
	v_pack_b32_f16 v17, v18, v17
	v_lshlrev_b32_e32 v64, 2, v15
	ds_write2_b32 v64, v17, v14 offset1:4
	v_mul_f16_sdwa v14, v21, v56 dst_sel:DWORD dst_unused:UNUSED_PAD src0_sel:DWORD src1_sel:WORD_1
	v_fma_f16 v20, v26, v56, v20
	v_fma_f16 v14, v24, v56, -v14
	v_mul_f16_sdwa v15, v24, v56 dst_sel:DWORD dst_unused:UNUSED_PAD src0_sel:DWORD src1_sel:WORD_1
	v_lshrrev_b32_e32 v24, 16, v19
	v_sub_f16_e32 v16, v19, v16
	v_sub_f16_e32 v20, v24, v20
	v_lshrrev_b32_e32 v18, 16, v25
	v_fma_f16 v15, v21, v56, v15
	v_mul_f16_sdwa v21, v25, v56 dst_sel:DWORD dst_unused:UNUSED_PAD src0_sel:DWORD src1_sel:WORD_1
	v_fma_f16 v19, v19, 2.0, -v16
	v_fma_f16 v24, v24, 2.0, -v20
	v_mul_f16_sdwa v17, v18, v56 dst_sel:DWORD dst_unused:UNUSED_PAD src0_sel:DWORD src1_sel:WORD_1
	v_fma_f16 v18, v18, v56, v21
	v_lshrrev_b32_e32 v21, 16, v22
	v_pack_b32_f16 v19, v19, v24
	v_and_or_b32 v24, v5, s2, v9
	v_fma_f16 v17, v25, v56, -v17
	v_lshrrev_b32_e32 v25, 16, v23
	v_sub_f16_e32 v14, v22, v14
	v_sub_f16_e32 v15, v21, v15
	v_lshlrev_b32_e32 v66, 2, v24
	v_pack_b32_f16 v16, v16, v20
	s_movk_i32 s2, 0x3f8
	v_sub_f16_e32 v17, v23, v17
	v_fma_f16 v22, v22, 2.0, -v14
	v_fma_f16 v21, v21, 2.0, -v15
	v_sub_f16_e32 v18, v25, v18
	ds_write2_b32 v66, v19, v16 offset1:4
	v_and_or_b32 v16, v96, s2, v9
	s_movk_i32 s2, 0x2f8
	v_fma_f16 v23, v23, 2.0, -v17
	v_fma_f16 v25, v25, 2.0, -v18
	v_lshlrev_b32_e32 v67, 2, v16
	v_pack_b32_f16 v16, v22, v21
	v_pack_b32_f16 v14, v14, v15
	v_and_or_b32 v9, v4, s2, v9
	ds_write2_b32 v67, v16, v14 offset1:4
	v_lshlrev_b32_e32 v68, 2, v9
	v_pack_b32_f16 v9, v23, v25
	v_pack_b32_f16 v14, v17, v18
	ds_write2_b32 v68, v9, v14 offset1:4
	v_and_b32_e32 v9, 7, v10
	v_lshlrev_b32_e32 v14, 2, v9
	s_waitcnt lgkmcnt(0)
	; wave barrier
	s_waitcnt lgkmcnt(0)
	global_load_dword v65, v14, s[10:11] offset:24
	ds_read2_b32 v[14:15], v8 offset1:56
	ds_read2_b32 v[16:17], v72 offset0:80 offset1:136
	s_movk_i32 s2, 0x70
	v_and_or_b32 v26, v3, s2, v9
	v_lshlrev_b32_e32 v69, 2, v26
	s_waitcnt lgkmcnt(1)
	v_lshrrev_b32_e32 v18, 16, v14
	s_waitcnt lgkmcnt(0)
	v_lshrrev_b32_e32 v19, 16, v16
	s_movk_i32 s2, 0xf0
	v_and_b32_e32 v27, 15, v93
	v_and_b32_e32 v26, 15, v0
	s_waitcnt vmcnt(0)
	v_mul_f16_sdwa v20, v19, v65 dst_sel:DWORD dst_unused:UNUSED_PAD src0_sel:DWORD src1_sel:WORD_1
	v_fma_f16 v20, v16, v65, -v20
	v_mul_f16_sdwa v16, v16, v65 dst_sel:DWORD dst_unused:UNUSED_PAD src0_sel:DWORD src1_sel:WORD_1
	v_fma_f16 v16, v19, v65, v16
	v_sub_f16_e32 v19, v14, v20
	v_sub_f16_e32 v16, v18, v16
	v_fma_f16 v14, v14, 2.0, -v19
	v_fma_f16 v18, v18, 2.0, -v16
	v_pack_b32_f16 v14, v14, v18
	v_pack_b32_f16 v16, v19, v16
	ds_read2_b32 v[18:19], v8 offset0:112 offset1:168
	ds_read2_b32 v[20:21], v72 offset0:192 offset1:248
	;; [unrolled: 1-line block ×4, first 2 shown]
	s_waitcnt lgkmcnt(0)
	; wave barrier
	s_waitcnt lgkmcnt(0)
	ds_write2_b32 v69, v14, v16 offset1:8
	v_lshrrev_b32_e32 v14, 16, v17
	v_mul_f16_sdwa v16, v14, v65 dst_sel:DWORD dst_unused:UNUSED_PAD src0_sel:DWORD src1_sel:WORD_1
	v_fma_f16 v16, v17, v65, -v16
	v_mul_f16_sdwa v17, v17, v65 dst_sel:DWORD dst_unused:UNUSED_PAD src0_sel:DWORD src1_sel:WORD_1
	v_fma_f16 v14, v14, v65, v17
	v_lshrrev_b32_e32 v17, 16, v15
	v_sub_f16_e32 v16, v15, v16
	v_sub_f16_e32 v14, v17, v14
	v_fma_f16 v15, v15, 2.0, -v16
	v_fma_f16 v17, v17, 2.0, -v14
	v_pack_b32_f16 v14, v16, v14
	v_and_or_b32 v16, v7, s2, v9
	v_pack_b32_f16 v15, v15, v17
	v_lshlrev_b32_e32 v70, 2, v16
	ds_write2_b32 v70, v15, v14 offset1:8
	v_lshrrev_b32_e32 v14, 16, v20
	v_mul_f16_sdwa v15, v20, v65 dst_sel:DWORD dst_unused:UNUSED_PAD src0_sel:DWORD src1_sel:WORD_1
	v_fma_f16 v15, v14, v65, v15
	v_mul_f16_sdwa v14, v14, v65 dst_sel:DWORD dst_unused:UNUSED_PAD src0_sel:DWORD src1_sel:WORD_1
	v_fma_f16 v14, v20, v65, -v14
	v_lshrrev_b32_e32 v16, 16, v18
	v_sub_f16_e32 v14, v18, v14
	v_sub_f16_e32 v15, v16, v15
	s_movk_i32 s2, 0x1f0
	v_fma_f16 v16, v16, 2.0, -v15
	v_fma_f16 v17, v18, 2.0, -v14
	v_pack_b32_f16 v14, v14, v15
	v_and_or_b32 v15, v6, s2, v9
	v_pack_b32_f16 v16, v17, v16
	v_lshlrev_b32_e32 v71, 2, v15
	ds_write2_b32 v71, v16, v14 offset1:8
	v_lshrrev_b32_e32 v14, 16, v21
	v_mul_f16_sdwa v15, v14, v65 dst_sel:DWORD dst_unused:UNUSED_PAD src0_sel:DWORD src1_sel:WORD_1
	v_mul_f16_sdwa v16, v21, v65 dst_sel:DWORD dst_unused:UNUSED_PAD src0_sel:DWORD src1_sel:WORD_1
	v_fma_f16 v15, v21, v65, -v15
	v_fma_f16 v14, v14, v65, v16
	v_lshrrev_b32_e32 v16, 16, v19
	v_sub_f16_e32 v15, v19, v15
	v_sub_f16_e32 v14, v16, v14
	v_fma_f16 v17, v19, 2.0, -v15
	v_fma_f16 v16, v16, 2.0, -v14
	v_pack_b32_f16 v14, v15, v14
	v_and_or_b32 v15, v5, s2, v9
	v_pack_b32_f16 v16, v17, v16
	v_lshlrev_b32_e32 v73, 2, v15
	ds_write2_b32 v73, v16, v14 offset1:8
	v_lshrrev_b32_e32 v14, 16, v24
	v_mul_f16_sdwa v15, v24, v65 dst_sel:DWORD dst_unused:UNUSED_PAD src0_sel:DWORD src1_sel:WORD_1
	v_fma_f16 v15, v14, v65, v15
	v_mul_f16_sdwa v14, v14, v65 dst_sel:DWORD dst_unused:UNUSED_PAD src0_sel:DWORD src1_sel:WORD_1
	v_fma_f16 v14, v24, v65, -v14
	v_lshrrev_b32_e32 v16, 16, v22
	v_sub_f16_e32 v14, v22, v14
	v_sub_f16_e32 v15, v16, v15
	s_movk_i32 s2, 0x3f0
	v_fma_f16 v16, v16, 2.0, -v15
	v_fma_f16 v17, v22, 2.0, -v14
	v_pack_b32_f16 v14, v14, v15
	v_and_or_b32 v15, v96, s2, v9
	v_pack_b32_f16 v16, v17, v16
	v_lshlrev_b32_e32 v76, 2, v15
	ds_write2_b32 v76, v16, v14 offset1:8
	v_lshrrev_b32_e32 v14, 16, v25
	v_mul_f16_sdwa v15, v14, v65 dst_sel:DWORD dst_unused:UNUSED_PAD src0_sel:DWORD src1_sel:WORD_1
	v_mul_f16_sdwa v16, v25, v65 dst_sel:DWORD dst_unused:UNUSED_PAD src0_sel:DWORD src1_sel:WORD_1
	v_fma_f16 v15, v25, v65, -v15
	v_fma_f16 v14, v14, v65, v16
	v_lshrrev_b32_e32 v16, 16, v23
	v_sub_f16_e32 v15, v23, v15
	v_sub_f16_e32 v14, v16, v14
	s_movk_i32 s2, 0x2f0
	v_fma_f16 v17, v23, 2.0, -v15
	v_fma_f16 v16, v16, 2.0, -v14
	v_and_or_b32 v9, v4, s2, v9
	v_pack_b32_f16 v16, v17, v16
	v_lshlrev_b32_e32 v79, 2, v9
	v_pack_b32_f16 v9, v15, v14
	ds_write2_b32 v79, v16, v9 offset1:8
	v_and_b32_e32 v9, 15, v10
	v_lshlrev_b32_e32 v14, 2, v9
	s_waitcnt lgkmcnt(0)
	; wave barrier
	s_waitcnt lgkmcnt(0)
	global_load_dword v74, v14, s[10:11] offset:56
	v_lshlrev_b32_e32 v16, 2, v27
	v_lshlrev_b32_e32 v14, 2, v26
	global_load_dword v75, v16, s[10:11] offset:56
	global_load_ushort v78, v14, s[10:11] offset:56
	v_lshlrev_b32_e32 v14, 2, v28
	global_load_ushort v80, v14, s[10:11] offset:58
	global_load_ushort v83, v14, s[10:11] offset:56
	;; [unrolled: 1-line block ×3, first 2 shown]
	ds_read2_b32 v[14:15], v72 offset0:80 offset1:136
	ds_read2_b32 v[16:17], v8 offset1:56
	s_movk_i32 s2, 0x60
	v_and_or_b32 v3, v3, s2, v9
	v_lshlrev_b32_e32 v81, 2, v3
	s_waitcnt lgkmcnt(1)
	v_lshrrev_b32_e32 v18, 16, v14
	v_lshrrev_b32_e32 v3, 16, v15
	s_movk_i32 s2, 0xe0
	v_and_or_b32 v7, v7, s2, v26
	v_lshlrev_b32_e32 v84, 2, v7
	s_movk_i32 s2, 0x1e0
	v_and_or_b32 v6, v6, s2, v9
	v_lshlrev_b32_e32 v85, 2, v6
	v_and_or_b32 v5, v5, s2, v28
	v_lshlrev_b32_e32 v86, 2, v5
	s_movk_i32 s2, 0x3e0
	s_waitcnt vmcnt(5)
	v_mul_f16_sdwa v19, v14, v74 dst_sel:DWORD dst_unused:UNUSED_PAD src0_sel:DWORD src1_sel:WORD_1
	v_fma_f16 v19, v18, v74, v19
	v_mul_f16_sdwa v18, v18, v74 dst_sel:DWORD dst_unused:UNUSED_PAD src0_sel:DWORD src1_sel:WORD_1
	v_fma_f16 v14, v14, v74, -v18
	s_waitcnt lgkmcnt(0)
	v_lshrrev_b32_e32 v18, 16, v16
	v_sub_f16_e32 v14, v16, v14
	v_sub_f16_e32 v19, v18, v19
	v_fma_f16 v18, v18, 2.0, -v19
	v_fma_f16 v16, v16, 2.0, -v14
	v_pack_b32_f16 v16, v16, v18
	v_pack_b32_f16 v14, v14, v19
	ds_read2_b32 v[18:19], v8 offset0:112 offset1:168
	ds_read2_b32 v[20:21], v72 offset0:192 offset1:248
	;; [unrolled: 1-line block ×4, first 2 shown]
	s_waitcnt lgkmcnt(0)
	; wave barrier
	s_waitcnt lgkmcnt(0)
	ds_write2_b32 v81, v16, v14 offset1:16
	s_waitcnt vmcnt(4)
	v_mul_f16_sdwa v14, v3, v75 dst_sel:DWORD dst_unused:UNUSED_PAD src0_sel:DWORD src1_sel:WORD_1
	s_waitcnt vmcnt(3)
	v_fma_f16 v14, v15, v78, -v14
	v_mul_f16_sdwa v15, v15, v75 dst_sel:DWORD dst_unused:UNUSED_PAD src0_sel:DWORD src1_sel:WORD_1
	v_fma_f16 v3, v3, v78, v15
	v_lshrrev_b32_e32 v15, 16, v17
	v_sub_f16_e32 v14, v17, v14
	v_sub_f16_e32 v3, v15, v3
	v_fma_f16 v16, v17, 2.0, -v14
	v_fma_f16 v15, v15, 2.0, -v3
	v_pack_b32_f16 v15, v16, v15
	v_pack_b32_f16 v3, v14, v3
	ds_write2_b32 v84, v15, v3 offset1:16
	v_lshrrev_b32_e32 v3, 16, v20
	v_mul_f16_sdwa v7, v20, v74 dst_sel:DWORD dst_unused:UNUSED_PAD src0_sel:DWORD src1_sel:WORD_1
	v_fma_f16 v7, v3, v74, v7
	v_mul_f16_sdwa v3, v3, v74 dst_sel:DWORD dst_unused:UNUSED_PAD src0_sel:DWORD src1_sel:WORD_1
	v_fma_f16 v3, v20, v74, -v3
	v_lshrrev_b32_e32 v14, 16, v18
	v_sub_f16_e32 v3, v18, v3
	v_sub_f16_e32 v7, v14, v7
	v_fma_f16 v14, v14, 2.0, -v7
	v_fma_f16 v15, v18, 2.0, -v3
	v_pack_b32_f16 v14, v15, v14
	v_pack_b32_f16 v3, v3, v7
	ds_write2_b32 v85, v14, v3 offset1:16
	v_lshrrev_b32_e32 v3, 16, v21
	s_waitcnt vmcnt(2)
	v_mul_f16_e32 v6, v3, v80
	v_mul_f16_e32 v7, v21, v80
	s_waitcnt vmcnt(1)
	v_fma_f16 v6, v21, v83, -v6
	v_fma_f16 v3, v3, v83, v7
	v_lshrrev_b32_e32 v7, 16, v19
	v_sub_f16_e32 v6, v19, v6
	v_sub_f16_e32 v3, v7, v3
	v_fma_f16 v14, v19, 2.0, -v6
	v_fma_f16 v7, v7, 2.0, -v3
	v_pack_b32_f16 v7, v14, v7
	v_pack_b32_f16 v3, v6, v3
	ds_write2_b32 v86, v7, v3 offset1:16
	v_lshrrev_b32_e32 v3, 16, v24
	v_mul_f16_sdwa v5, v24, v74 dst_sel:DWORD dst_unused:UNUSED_PAD src0_sel:DWORD src1_sel:WORD_1
	v_fma_f16 v5, v3, v74, v5
	v_mul_f16_sdwa v3, v3, v74 dst_sel:DWORD dst_unused:UNUSED_PAD src0_sel:DWORD src1_sel:WORD_1
	v_fma_f16 v3, v24, v74, -v3
	v_lshrrev_b32_e32 v6, 16, v22
	v_sub_f16_e32 v3, v22, v3
	v_sub_f16_e32 v5, v6, v5
	v_fma_f16 v6, v6, 2.0, -v5
	v_fma_f16 v7, v22, 2.0, -v3
	v_pack_b32_f16 v3, v3, v5
	v_and_or_b32 v5, v96, s2, v9
	v_pack_b32_f16 v6, v7, v6
	v_lshlrev_b32_e32 v87, 2, v5
	ds_write2_b32 v87, v6, v3 offset1:16
	v_lshrrev_b32_e32 v3, 16, v25
	s_waitcnt vmcnt(0)
	v_mul_f16_e32 v5, v3, v82
	v_mul_f16_e32 v6, v25, v82
	v_fma_f16 v5, v25, v75, -v5
	v_fma_f16 v3, v3, v75, v6
	v_lshrrev_b32_e32 v6, 16, v23
	v_sub_f16_e32 v5, v23, v5
	s_movk_i32 s2, 0x2e0
	v_sub_f16_e32 v3, v6, v3
	v_fma_f16 v7, v23, 2.0, -v5
	v_and_or_b32 v4, v4, s2, v27
	v_fma_f16 v6, v6, 2.0, -v3
	v_pack_b32_f16 v6, v7, v6
	v_pack_b32_f16 v3, v5, v3
	v_lshlrev_b32_e32 v88, 2, v4
	ds_write2_b32 v88, v6, v3 offset1:16
	v_and_b32_e32 v3, 31, v94
	v_lshlrev_b32_e32 v4, 3, v3
	s_waitcnt lgkmcnt(0)
	; wave barrier
	s_waitcnt lgkmcnt(0)
	global_load_dwordx2 v[14:15], v4, s[10:11] offset:120
	v_and_b32_e32 v9, 31, v10
	v_lshlrev_b32_e32 v4, 3, v9
	global_load_dwordx2 v[22:23], v4, s[10:11] offset:120
	v_lshlrev_b32_e32 v4, 3, v32
	global_load_dwordx2 v[16:17], v4, s[10:11] offset:120
	;; [unrolled: 2-line block ×3, first 2 shown]
	ds_read2_b32 v[4:5], v72 offset0:80 offset1:136
	ds_read2_b32 v[6:7], v1 offset0:48 offset1:104
	s_movk_i32 s2, 0x3aee
	ds_read2_b32 v[30:31], v8 offset1:56
	s_waitcnt lgkmcnt(2)
	v_lshrrev_b32_e32 v18, 16, v4
	s_waitcnt lgkmcnt(0)
	v_lshrrev_b32_e32 v39, 16, v30
	s_waitcnt vmcnt(3)
	v_mul_f16_sdwa v1, v4, v14 dst_sel:DWORD dst_unused:UNUSED_PAD src0_sel:DWORD src1_sel:WORD_1
	v_fma_f16 v1, v18, v14, v1
	v_mul_f16_sdwa v18, v18, v14 dst_sel:DWORD dst_unused:UNUSED_PAD src0_sel:DWORD src1_sel:WORD_1
	v_fma_f16 v4, v4, v14, -v18
	v_lshrrev_b32_e32 v18, 16, v6
	v_mul_f16_sdwa v19, v6, v15 dst_sel:DWORD dst_unused:UNUSED_PAD src0_sel:DWORD src1_sel:WORD_1
	v_fma_f16 v34, v18, v15, v19
	v_mul_f16_sdwa v24, v18, v15 dst_sel:DWORD dst_unused:UNUSED_PAD src0_sel:DWORD src1_sel:WORD_1
	ds_read2_b32 v[18:19], v8 offset0:112 offset1:168
	v_fma_f16 v6, v6, v15, -v24
	v_add_f16_e32 v24, v4, v6
	v_sub_f16_e32 v28, v1, v34
	s_waitcnt lgkmcnt(0)
	v_fma_f16 v27, v24, -0.5, v18
	ds_read2_b32 v[24:25], v77 offset0:96 offset1:152
	v_fma_f16 v26, v28, s2, v27
	v_fma_f16 v27, v28, s3, v27
	ds_read2_b32 v[28:29], v72 offset0:192 offset1:248
	s_waitcnt lgkmcnt(0)
	v_lshrrev_b32_e32 v35, 16, v24
	s_waitcnt vmcnt(2)
	v_mul_f16_sdwa v36, v24, v22 dst_sel:DWORD dst_unused:UNUSED_PAD src0_sel:DWORD src1_sel:WORD_1
	v_fma_f16 v36, v35, v22, v36
	v_lshrrev_b32_e32 v37, 16, v28
	v_mul_f16_sdwa v35, v35, v22 dst_sel:DWORD dst_unused:UNUSED_PAD src0_sel:DWORD src1_sel:WORD_1
	v_mul_f16_sdwa v38, v28, v23 dst_sel:DWORD dst_unused:UNUSED_PAD src0_sel:DWORD src1_sel:WORD_1
	v_fma_f16 v24, v24, v22, -v35
	v_mul_f16_sdwa v35, v37, v23 dst_sel:DWORD dst_unused:UNUSED_PAD src0_sel:DWORD src1_sel:WORD_1
	v_fma_f16 v38, v37, v23, v38
	v_fma_f16 v28, v28, v23, -v35
	v_add_f16_e32 v35, v30, v24
	v_add_f16_e32 v89, v39, v36
	v_sub_f16_e32 v90, v36, v38
	v_add_f16_e32 v36, v36, v38
	v_add_f16_e32 v35, v35, v28
	;; [unrolled: 1-line block ×3, first 2 shown]
	v_sub_f16_e32 v24, v24, v28
	v_lshrrev_b32_e32 v28, 5, v10
	v_add_f16_e32 v89, v89, v38
	v_fma_f16 v36, v36, -0.5, v39
	v_mul_u32_u24_e32 v28, 0x60, v28
	v_fma_f16 v30, v37, -0.5, v30
	v_or_b32_e32 v9, v28, v9
	v_pack_b32_f16 v28, v35, v89
	v_fma_f16 v35, v90, s2, v30
	v_fma_f16 v37, v24, s3, v36
	v_pack_b32_f16 v35, v35, v37
	v_lshlrev_b32_e32 v89, 2, v9
	v_lshrrev_b32_e32 v9, 16, v25
	; wave barrier
	ds_write2_b32 v89, v28, v35 offset1:32
	s_waitcnt vmcnt(0)
	v_mul_f16_sdwa v28, v9, v20 dst_sel:DWORD dst_unused:UNUSED_PAD src0_sel:DWORD src1_sel:WORD_1
	v_fma_f16 v28, v25, v20, -v28
	v_mul_f16_sdwa v25, v25, v20 dst_sel:DWORD dst_unused:UNUSED_PAD src0_sel:DWORD src1_sel:WORD_1
	v_fma_f16 v9, v9, v20, v25
	v_lshrrev_b32_e32 v25, 16, v29
	v_mul_f16_sdwa v35, v25, v21 dst_sel:DWORD dst_unused:UNUSED_PAD src0_sel:DWORD src1_sel:WORD_1
	v_fma_f16 v35, v29, v21, -v35
	v_mul_f16_sdwa v29, v29, v21 dst_sel:DWORD dst_unused:UNUSED_PAD src0_sel:DWORD src1_sel:WORD_1
	v_fma_f16 v25, v25, v21, v29
	v_fma_f16 v29, v90, s3, v30
	;; [unrolled: 1-line block ×3, first 2 shown]
	v_lshrrev_b32_e32 v36, 16, v31
	v_pack_b32_f16 v24, v29, v24
	v_add_f16_e32 v30, v28, v35
	v_add_f16_e32 v37, v36, v9
	v_sub_f16_e32 v38, v9, v25
	v_add_f16_e32 v9, v9, v25
	ds_write_b32 v89, v24 offset:256
	v_lshrrev_b32_e32 v24, 5, v0
	v_fma_f16 v30, v30, -0.5, v31
	v_add_f16_e32 v31, v31, v28
	v_fma_f16 v9, v9, -0.5, v36
	v_sub_f16_e32 v28, v28, v35
	v_mul_u32_u24_e32 v24, 0x60, v24
	v_add_f16_e32 v37, v37, v25
	v_add_f16_e32 v25, v31, v35
	v_or_b32_e32 v24, v24, v33
	v_fma_f16 v29, v38, s2, v30
	v_fma_f16 v31, v28, s3, v9
	v_pack_b32_f16 v25, v25, v37
	v_pack_b32_f16 v29, v29, v31
	v_lshlrev_b32_e32 v90, 2, v24
	ds_write2_b32 v90, v25, v29 offset1:32
	v_fma_f16 v24, v38, s3, v30
	v_fma_f16 v9, v28, s2, v9
	v_lshrrev_b32_e32 v25, 16, v18
	v_add_f16_e32 v18, v18, v4
	v_add_f16_e32 v18, v18, v6
	v_sub_f16_e32 v4, v4, v6
	v_pack_b32_f16 v6, v24, v9
	v_add_f16_e32 v28, v25, v1
	v_add_f16_e32 v1, v1, v34
	ds_write_b32 v90, v6 offset:256
	v_lshrrev_b32_e32 v6, 5, v94
	v_fma_f16 v1, v1, -0.5, v25
	v_mul_u32_u24_e32 v6, 0x60, v6
	v_add_f16_e32 v28, v28, v34
	v_or_b32_e32 v3, v6, v3
	v_fma_f16 v98, v4, s3, v1
	v_pack_b32_f16 v6, v18, v28
	v_lshlrev_b32_e32 v91, 2, v3
	v_pack_b32_f16 v3, v26, v98
	ds_write2_b32 v91, v6, v3 offset1:32
	v_lshrrev_b32_e32 v3, 16, v5
	v_mul_f16_sdwa v6, v3, v16 dst_sel:DWORD dst_unused:UNUSED_PAD src0_sel:DWORD src1_sel:WORD_1
	v_fma_f16 v6, v5, v16, -v6
	v_mul_f16_sdwa v5, v5, v16 dst_sel:DWORD dst_unused:UNUSED_PAD src0_sel:DWORD src1_sel:WORD_1
	v_fma_f16 v3, v3, v16, v5
	v_lshrrev_b32_e32 v5, 16, v7
	v_mul_f16_sdwa v9, v5, v17 dst_sel:DWORD dst_unused:UNUSED_PAD src0_sel:DWORD src1_sel:WORD_1
	v_fma_f16 v9, v7, v17, -v9
	v_mul_f16_sdwa v7, v7, v17 dst_sel:DWORD dst_unused:UNUSED_PAD src0_sel:DWORD src1_sel:WORD_1
	v_fma_f16 v99, v4, s2, v1
	v_lshrrev_b32_e32 v4, 16, v19
	v_fma_f16 v5, v5, v17, v7
	v_add_f16_e32 v18, v4, v3
	v_add_f16_e32 v100, v18, v5
	v_sub_f16_e32 v18, v3, v5
	v_add_f16_e32 v3, v3, v5
	v_fma_f16 v3, v3, -0.5, v4
	v_pack_b32_f16 v4, v27, v99
	v_add_f16_e32 v1, v6, v9
	ds_write_b32 v91, v4 offset:256
	v_lshrrev_b32_e32 v4, 5, v95
	v_fma_f16 v1, v1, -0.5, v19
	v_add_f16_e32 v7, v19, v6
	v_mul_u32_u24_e32 v4, 0x60, v4
	v_sub_f16_e32 v5, v6, v9
	v_or_b32_e32 v4, v4, v32
	v_add_f16_e32 v32, v7, v9
	v_fma_f16 v33, v18, s2, v1
	v_fma_f16 v101, v5, s3, v3
	;; [unrolled: 1-line block ×4, first 2 shown]
	v_lshlrev_b32_e32 v92, 2, v4
	v_pack_b32_f16 v4, v32, v100
	v_pack_b32_f16 v6, v33, v101
	;; [unrolled: 1-line block ×3, first 2 shown]
	ds_write2_b32 v92, v4, v6 offset1:32
	ds_write_b32 v92, v1 offset:256
	s_waitcnt lgkmcnt(0)
	; wave barrier
	s_waitcnt lgkmcnt(0)
	ds_read_b32 v105, v8 offset:2304
	ds_read2_b32 v[30:31], v8 offset1:96
	ds_read2_b32 v[38:39], v77 offset0:64 offset1:160
	ds_read2_b32 v[36:37], v72 offset0:128 offset1:224
	v_mov_b32_e32 v9, v11
                                        ; implicit-def: $vgpr11
	s_and_saveexec_b64 s[2:3], vcc
	s_cbranch_execz .LBB0_3
; %bb.2:
	ds_read2_b32 v[26:27], v8 offset0:56 offset1:152
	ds_read2_b32 v[32:33], v77 offset0:120 offset1:216
	;; [unrolled: 1-line block ×3, first 2 shown]
	ds_read_b32 v11, v8 offset:2528
	s_waitcnt lgkmcnt(3)
	v_lshrrev_b32_e32 v98, 16, v26
	v_lshrrev_b32_e32 v99, 16, v27
	s_waitcnt lgkmcnt(2)
	v_lshrrev_b32_e32 v100, 16, v32
	v_lshrrev_b32_e32 v101, 16, v33
	s_waitcnt lgkmcnt(1)
	v_lshrrev_b32_e32 v102, 16, v34
	v_lshrrev_b32_e32 v103, 16, v35
	s_waitcnt lgkmcnt(0)
	v_lshrrev_b32_e32 v104, 16, v11
.LBB0_3:
	s_or_b64 exec, exec, s[2:3]
	v_mad_u64_u32 v[2:3], s[2:3], v10, 24, s[10:11]
	global_load_dwordx4 v[4:7], v[2:3], off offset:376
	global_load_dwordx2 v[24:25], v[2:3], off offset:392
	v_subrev_u32_e32 v1, 40, v10
	v_cndmask_b32_e32 v0, v1, v0, vcc
	v_mul_hi_i32_i24_e32 v1, 24, v0
	v_mul_i32_i24_e32 v0, 24, v0
	v_lshl_add_u64 v[28:29], s[10:11], 0, v[0:1]
	global_load_dwordx4 v[0:3], v[28:29], off offset:376
	global_load_dwordx2 v[18:19], v[28:29], off offset:392
	v_lshl_add_u64 v[28:29], s[8:9], 0, v[8:9]
	v_lshlrev_b32_e32 v97, 3, v94
	v_lshlrev_b32_e32 v94, 2, v96
	s_waitcnt lgkmcnt(2)
	v_lshrrev_b32_e32 v9, 16, v31
	s_waitcnt lgkmcnt(1)
	v_lshrrev_b32_e32 v96, 16, v38
	;; [unrolled: 2-line block ×3, first 2 shown]
	v_lshrrev_b32_e32 v109, 16, v105
	v_lshrrev_b32_e32 v106, 16, v39
	;; [unrolled: 1-line block ×3, first 2 shown]
	s_movk_i32 s3, 0x3b00
	s_movk_i32 s11, 0x39e0
	;; [unrolled: 1-line block ×3, first 2 shown]
	s_mov_b32 s10, 0xbcab
	s_movk_i32 s12, 0x3574
	s_movk_i32 s13, 0x370e
	v_lshlrev_b32_e32 v95, 3, v95
	v_lshlrev_b32_e32 v93, 3, v93
	s_waitcnt vmcnt(3)
	v_mul_f16_sdwa v110, v9, v4 dst_sel:DWORD dst_unused:UNUSED_PAD src0_sel:DWORD src1_sel:WORD_1
	v_mul_f16_sdwa v111, v31, v4 dst_sel:DWORD dst_unused:UNUSED_PAD src0_sel:DWORD src1_sel:WORD_1
	;; [unrolled: 1-line block ×4, first 2 shown]
	s_waitcnt vmcnt(2)
	v_mul_f16_sdwa v118, v108, v24 dst_sel:DWORD dst_unused:UNUSED_PAD src0_sel:DWORD src1_sel:WORD_1
	v_mul_f16_sdwa v119, v37, v24 dst_sel:DWORD dst_unused:UNUSED_PAD src0_sel:DWORD src1_sel:WORD_1
	;; [unrolled: 1-line block ×8, first 2 shown]
	v_fma_f16 v31, v31, v4, -v110
	v_fma_f16 v9, v9, v4, v111
	v_fma_f16 v38, v38, v5, -v112
	v_fma_f16 v96, v96, v5, v113
	;; [unrolled: 2-line block ×6, first 2 shown]
	v_add_f16_e32 v110, v31, v105
	v_add_f16_e32 v111, v9, v109
	v_sub_f16_e32 v31, v31, v105
	v_sub_f16_e32 v9, v9, v109
	v_add_f16_e32 v105, v38, v37
	v_add_f16_e32 v109, v96, v108
	v_sub_f16_e32 v37, v38, v37
	v_sub_f16_e32 v38, v96, v108
	;; [unrolled: 4-line block ×3, first 2 shown]
	s_waitcnt vmcnt(1)
	v_mul_f16_sdwa v106, v99, v0 dst_sel:DWORD dst_unused:UNUSED_PAD src0_sel:DWORD src1_sel:WORD_1
	v_mul_f16_sdwa v107, v27, v0 dst_sel:DWORD dst_unused:UNUSED_PAD src0_sel:DWORD src1_sel:WORD_1
	v_mul_f16_sdwa v112, v100, v1 dst_sel:DWORD dst_unused:UNUSED_PAD src0_sel:DWORD src1_sel:WORD_1
	v_mul_f16_sdwa v113, v32, v1 dst_sel:DWORD dst_unused:UNUSED_PAD src0_sel:DWORD src1_sel:WORD_1
	v_add_f16_e32 v122, v105, v110
	v_add_f16_e32 v123, v109, v111
	v_mul_f16_sdwa v114, v101, v2 dst_sel:DWORD dst_unused:UNUSED_PAD src0_sel:DWORD src1_sel:WORD_1
	v_sub_f16_e32 v124, v105, v110
	v_sub_f16_e32 v125, v109, v111
	v_fma_f16 v27, v27, v0, -v106
	v_fma_f16 v99, v99, v0, v107
	v_fma_f16 v32, v32, v1, -v112
	v_fma_f16 v100, v100, v1, v113
	v_sub_f16_e32 v106, v110, v96
	v_sub_f16_e32 v107, v111, v108
	;; [unrolled: 1-line block ×4, first 2 shown]
	v_add_f16_e32 v110, v36, v37
	v_add_f16_e32 v111, v39, v38
	v_sub_f16_e32 v112, v36, v37
	v_sub_f16_e32 v113, v39, v38
	v_add_f16_e32 v96, v96, v122
	v_add_f16_e32 v108, v108, v123
	v_mul_f16_sdwa v115, v33, v2 dst_sel:DWORD dst_unused:UNUSED_PAD src0_sel:DWORD src1_sel:WORD_1
	v_mul_f16_sdwa v116, v102, v3 dst_sel:DWORD dst_unused:UNUSED_PAD src0_sel:DWORD src1_sel:WORD_1
	v_fma_f16 v33, v33, v2, -v114
	v_sub_f16_e32 v36, v31, v36
	v_sub_f16_e32 v39, v9, v39
	;; [unrolled: 1-line block ×4, first 2 shown]
	v_add_f16_e32 v31, v110, v31
	v_add_f16_e32 v9, v111, v9
	;; [unrolled: 1-line block ×3, first 2 shown]
	v_add_f16_sdwa v111, v30, v108 dst_sel:DWORD dst_unused:UNUSED_PAD src0_sel:WORD_1 src1_sel:DWORD
	v_mul_f16_e32 v30, 0x3a52, v106
	v_mul_f16_e32 v106, 0x3a52, v107
	;; [unrolled: 1-line block ×6, first 2 shown]
	v_mul_f16_sdwa v117, v34, v3 dst_sel:DWORD dst_unused:UNUSED_PAD src0_sel:DWORD src1_sel:WORD_1
	s_waitcnt vmcnt(0)
	v_mul_f16_sdwa v118, v103, v18 dst_sel:DWORD dst_unused:UNUSED_PAD src0_sel:DWORD src1_sel:WORD_1
	v_fma_f16 v101, v101, v2, v115
	v_fma_f16 v34, v34, v3, -v116
	v_mul_f16_e32 v115, 0x3b00, v37
	v_mul_f16_e32 v116, 0x3b00, v38
	v_fma_f16 v107, v124, s11, -v107
	v_fma_f16 v114, v125, s11, -v114
	s_mov_b32 s11, 0xb9e0
	v_fma_f16 v37, v37, s3, -v112
	v_fma_f16 v38, v38, s3, -v113
	s_mov_b32 s3, 0xb574
	v_mul_f16_sdwa v119, v35, v18 dst_sel:DWORD dst_unused:UNUSED_PAD src0_sel:DWORD src1_sel:WORD_1
	v_mul_f16_sdwa v120, v104, v19 dst_sel:DWORD dst_unused:UNUSED_PAD src0_sel:DWORD src1_sel:WORD_1
	;; [unrolled: 1-line block ×3, first 2 shown]
	v_fma_f16 v102, v102, v3, v117
	v_fma_f16 v35, v35, v18, -v118
	v_fma_f16 v96, v96, s10, v110
	v_fma_f16 v108, v108, s10, v111
	;; [unrolled: 1-line block ×4, first 2 shown]
	v_fma_f16 v30, v124, s11, -v30
	v_fma_f16 v106, v125, s11, -v106
	v_fma_f16 v117, v36, s12, v112
	v_fma_f16 v118, v39, s12, v113
	v_fma_f16 v36, v36, s3, -v115
	v_fma_f16 v39, v39, s3, -v116
	v_fma_f16 v103, v103, v18, v119
	v_fma_f16 v11, v11, v19, -v120
	v_fma_f16 v104, v104, v19, v121
	v_add_f16_e32 v105, v105, v96
	v_add_f16_e32 v109, v109, v108
	;; [unrolled: 1-line block ×6, first 2 shown]
	v_fma_f16 v106, v31, s13, v117
	v_fma_f16 v108, v9, s13, v118
	;; [unrolled: 1-line block ×6, first 2 shown]
	v_add_f16_e32 v115, v9, v30
	v_sub_f16_e32 v116, v96, v31
	v_sub_f16_e32 v120, v30, v9
	v_add_f16_e32 v121, v31, v96
	v_add_f16_e32 v9, v27, v11
	;; [unrolled: 1-line block ×5, first 2 shown]
	v_sub_f16_e32 v117, v107, v38
	v_add_f16_e32 v118, v37, v112
	v_add_f16_e32 v119, v38, v107
	v_sub_f16_e32 v112, v112, v37
	v_sub_f16_e32 v11, v27, v11
	;; [unrolled: 1-line block ×5, first 2 shown]
	v_add_f16_e32 v39, v33, v34
	v_add_f16_e32 v96, v101, v102
	v_sub_f16_e32 v99, v34, v33
	v_sub_f16_e32 v100, v102, v101
	v_add_f16_e32 v101, v31, v9
	v_add_f16_e32 v102, v36, v30
	;; [unrolled: 1-line block ×3, first 2 shown]
	v_sub_f16_e32 v114, v109, v106
	v_add_f16_e32 v109, v106, v109
	v_sub_f16_e32 v32, v31, v9
	v_sub_f16_e32 v33, v36, v30
	;; [unrolled: 1-line block ×6, first 2 shown]
	v_add_f16_e32 v31, v99, v37
	v_add_f16_e32 v36, v100, v38
	v_sub_f16_e32 v103, v99, v37
	v_sub_f16_e32 v104, v100, v38
	;; [unrolled: 1-line block ×4, first 2 shown]
	v_add_f16_e32 v101, v39, v101
	v_add_f16_e32 v102, v96, v102
	v_sub_f16_e32 v122, v105, v108
	v_sub_f16_e32 v99, v11, v99
	;; [unrolled: 1-line block ×3, first 2 shown]
	v_add_f16_e32 v38, v31, v11
	v_add_f16_e32 v39, v36, v27
	;; [unrolled: 1-line block ×4, first 2 shown]
	v_mul_f16_e32 v9, 0x3a52, v9
	v_mul_f16_e32 v11, 0x3a52, v30
	v_mul_f16_e32 v96, 0xb846, v103
	v_mul_f16_e32 v36, 0xb846, v104
	v_mul_f16_e32 v100, 0x3b00, v37
	v_mul_f16_e32 v98, 0x3b00, v106
	v_pack_b32_f16 v110, v110, v111
	v_pack_b32_f16 v111, v113, v114
	v_fma_f16 v37, v101, s10, v26
	v_fma_f16 v103, v102, s10, v31
	;; [unrolled: 1-line block ×4, first 2 shown]
	v_fma_f16 v9, v32, s11, -v9
	v_fma_f16 v11, v33, s11, -v11
	v_fma_f16 v104, v99, s12, v96
	v_fma_f16 v107, v105, s12, v36
	v_fma_f16 v108, v99, s3, -v100
	v_fma_f16 v123, v105, s3, -v98
	ds_write2_b32 v8, v110, v111 offset1:96
	v_pack_b32_f16 v110, v115, v116
	v_pack_b32_f16 v111, v117, v118
	v_add_f16_e32 v99, v27, v37
	v_add_f16_e32 v101, v30, v103
	v_add_f16_e32 v102, v9, v37
	v_add_f16_e32 v106, v11, v103
	v_fma_f16 v104, v38, s13, v104
	v_fma_f16 v105, v39, s13, v107
	v_fma_f16 v107, v38, s13, v108
	v_fma_f16 v108, v39, s13, v123
	ds_write2_b32 v77, v110, v111 offset0:64 offset1:160
	v_pack_b32_f16 v77, v119, v112
	v_pack_b32_f16 v110, v120, v121
	v_sub_f16_e32 v27, v102, v108
	v_add_f16_e32 v9, v107, v106
	v_sub_f16_e32 v11, v99, v105
	v_add_f16_e32 v30, v104, v101
	ds_write2_b32 v72, v77, v110 offset0:128 offset1:224
	v_pack_b32_f16 v72, v122, v109
	ds_write_b32 v8, v72 offset:2304
	s_and_saveexec_b64 s[2:3], vcc
	s_cbranch_execz .LBB0_5
; %bb.4:
	v_mul_f16_e32 v34, 0x2b26, v34
	v_mul_f16_e32 v35, 0x2b26, v35
	v_mul_f16_e32 v32, 0x39e0, v32
	v_mul_f16_e32 v33, 0x39e0, v33
	v_mul_f16_e32 v38, 0x370e, v38
	v_mul_f16_e32 v39, 0x370e, v39
	v_sub_f16_e32 v33, v33, v35
	v_sub_f16_e32 v35, v100, v96
	;; [unrolled: 1-line block ×4, first 2 shown]
	v_add_f16_e32 v33, v33, v103
	v_add_f16_e32 v35, v38, v35
	;; [unrolled: 1-line block ×4, first 2 shown]
	v_sub_f16_e32 v37, v101, v104
	v_add_f16_e32 v39, v105, v99
	s_mov_b32 s10, 0x5040100
	v_sub_f16_e32 v38, v33, v35
	v_add_f16_e32 v34, v36, v32
	v_add_f16_e32 v33, v35, v33
	v_sub_f16_e32 v32, v32, v36
	v_sub_f16_e32 v35, v106, v107
	v_add_f16_e32 v36, v108, v102
	v_perm_b32 v26, v31, v26, s10
	v_pack_b32_f16 v31, v39, v37
	ds_write2_b32 v8, v26, v31 offset0:56 offset1:152
	v_pack_b32_f16 v26, v36, v35
	v_pack_b32_f16 v31, v32, v33
	v_add_u32_e32 v32, 0x200, v8
	ds_write2_b32 v32, v26, v31 offset0:120 offset1:216
	v_pack_b32_f16 v26, v34, v38
	v_perm_b32 v31, v9, v27, s10
	v_add_u32_e32 v32, 0x600, v8
	ds_write2_b32 v32, v26, v31 offset0:56 offset1:152
	v_perm_b32 v26, v30, v11, s10
	ds_write_b32 v8, v26 offset:2528
.LBB0_5:
	s_or_b64 exec, exec, s[2:3]
	s_waitcnt lgkmcnt(0)
	; wave barrier
	s_waitcnt lgkmcnt(0)
	global_load_dword v34, v[28:29], off offset:2688
	s_add_u32 s2, s8, 0xa80
	s_addc_u32 s3, s9, 0
	v_lshlrev_b32_e32 v33, 2, v10
	global_load_dword v35, v33, s[2:3] offset:224
	global_load_dword v72, v33, s[2:3] offset:1344
	;; [unrolled: 1-line block ×11, first 2 shown]
	ds_read2_b32 v[28:29], v8 offset1:56
	v_add_u32_e32 v31, 0x400, v8
	v_add_u32_e32 v32, 0x200, v8
	;; [unrolled: 1-line block ×4, first 2 shown]
	s_waitcnt lgkmcnt(0)
	v_lshrrev_b32_e32 v36, 16, v28
	v_lshrrev_b32_e32 v37, 16, v29
	s_mov_b32 s2, 0xbaee
	s_movk_i32 s3, 0x3aee
	s_waitcnt vmcnt(11)
	v_mul_f16_sdwa v38, v36, v34 dst_sel:DWORD dst_unused:UNUSED_PAD src0_sel:DWORD src1_sel:WORD_1
	v_mul_f16_sdwa v39, v28, v34 dst_sel:DWORD dst_unused:UNUSED_PAD src0_sel:DWORD src1_sel:WORD_1
	v_fma_f16 v28, v28, v34, -v38
	v_fma_f16 v34, v36, v34, v39
	v_pack_b32_f16 v28, v28, v34
	s_waitcnt vmcnt(10)
	v_mul_f16_sdwa v34, v37, v35 dst_sel:DWORD dst_unused:UNUSED_PAD src0_sel:DWORD src1_sel:WORD_1
	v_mul_f16_sdwa v36, v29, v35 dst_sel:DWORD dst_unused:UNUSED_PAD src0_sel:DWORD src1_sel:WORD_1
	ds_write_b32 v8, v28
	v_fma_f16 v34, v29, v35, -v34
	v_fma_f16 v35, v37, v35, v36
	ds_read2_b32 v[28:29], v31 offset0:80 offset1:136
	v_pack_b32_f16 v107, v34, v35
	ds_read2_b32 v[34:35], v8 offset0:112 offset1:168
	ds_read2_b32 v[36:37], v31 offset0:192 offset1:248
	;; [unrolled: 1-line block ×4, first 2 shown]
	s_waitcnt lgkmcnt(3)
	v_lshrrev_b32_e32 v112, 16, v34
	v_lshrrev_b32_e32 v108, 16, v28
	s_waitcnt vmcnt(9)
	v_mul_f16_sdwa v109, v28, v72 dst_sel:DWORD dst_unused:UNUSED_PAD src0_sel:DWORD src1_sel:WORD_1
	v_lshrrev_b32_e32 v110, 16, v29
	s_waitcnt vmcnt(8)
	v_mul_f16_sdwa v111, v29, v77 dst_sel:DWORD dst_unused:UNUSED_PAD src0_sel:DWORD src1_sel:WORD_1
	s_waitcnt vmcnt(7)
	v_mul_f16_sdwa v113, v34, v96 dst_sel:DWORD dst_unused:UNUSED_PAD src0_sel:DWORD src1_sel:WORD_1
	s_waitcnt lgkmcnt(2)
	v_lshrrev_b32_e32 v114, 16, v36
	s_waitcnt vmcnt(6)
	v_mul_f16_sdwa v115, v36, v100 dst_sel:DWORD dst_unused:UNUSED_PAD src0_sel:DWORD src1_sel:WORD_1
	v_lshrrev_b32_e32 v116, 16, v35
	s_waitcnt vmcnt(5)
	v_mul_f16_sdwa v117, v35, v101 dst_sel:DWORD dst_unused:UNUSED_PAD src0_sel:DWORD src1_sel:WORD_1
	;; [unrolled: 3-line block ×3, first 2 shown]
	s_waitcnt lgkmcnt(1)
	v_lshrrev_b32_e32 v120, 16, v38
	s_waitcnt vmcnt(3)
	v_mul_f16_sdwa v121, v38, v103 dst_sel:DWORD dst_unused:UNUSED_PAD src0_sel:DWORD src1_sel:WORD_1
	s_waitcnt lgkmcnt(0)
	v_lshrrev_b32_e32 v122, 16, v98
	v_mul_f16_sdwa v125, v108, v72 dst_sel:DWORD dst_unused:UNUSED_PAD src0_sel:DWORD src1_sel:WORD_1
	v_fma_f16 v108, v108, v72, v109
	v_mul_f16_sdwa v109, v110, v77 dst_sel:DWORD dst_unused:UNUSED_PAD src0_sel:DWORD src1_sel:WORD_1
	v_fma_f16 v110, v110, v77, v111
	v_mul_f16_sdwa v111, v112, v96 dst_sel:DWORD dst_unused:UNUSED_PAD src0_sel:DWORD src1_sel:WORD_1
	s_waitcnt vmcnt(2)
	v_mul_f16_sdwa v123, v98, v104 dst_sel:DWORD dst_unused:UNUSED_PAD src0_sel:DWORD src1_sel:WORD_1
	v_fma_f16 v112, v112, v96, v113
	v_mul_f16_sdwa v113, v114, v100 dst_sel:DWORD dst_unused:UNUSED_PAD src0_sel:DWORD src1_sel:WORD_1
	v_fma_f16 v114, v114, v100, v115
	;; [unrolled: 2-line block ×5, first 2 shown]
	v_mul_f16_sdwa v121, v122, v104 dst_sel:DWORD dst_unused:UNUSED_PAD src0_sel:DWORD src1_sel:WORD_1
	v_fma_f16 v34, v34, v96, -v111
	v_lshrrev_b32_e32 v124, 16, v39
	v_fma_f16 v122, v122, v104, v123
	v_fma_f16 v28, v28, v72, -v125
	v_fma_f16 v29, v29, v77, -v109
	;; [unrolled: 1-line block ×7, first 2 shown]
	v_pack_b32_f16 v34, v34, v112
	s_waitcnt vmcnt(1)
	v_mul_f16_sdwa v123, v124, v105 dst_sel:DWORD dst_unused:UNUSED_PAD src0_sel:DWORD src1_sel:WORD_1
	v_pack_b32_f16 v29, v29, v110
	v_pack_b32_f16 v36, v36, v114
	;; [unrolled: 1-line block ×6, first 2 shown]
	ds_write2_b32 v8, v107, v34 offset0:56 offset1:112
	ds_write2_b32 v31, v29, v36 offset0:136 offset1:192
	ds_write2_b32 v8, v35, v38 offset0:168 offset1:224
	ds_write2_b32 v33, v37, v72 offset0:120 offset1:176
	v_mul_f16_sdwa v34, v39, v105 dst_sel:DWORD dst_unused:UNUSED_PAD src0_sel:DWORD src1_sel:WORD_1
	v_fma_f16 v29, v39, v105, -v123
	v_fma_f16 v34, v124, v105, v34
	v_pack_b32_f16 v28, v28, v108
	v_pack_b32_f16 v29, v29, v34
	ds_write2_b32 v31, v29, v28 offset0:24 offset1:80
	v_lshrrev_b32_e32 v28, 16, v99
	s_waitcnt vmcnt(0)
	v_mul_f16_sdwa v29, v28, v106 dst_sel:DWORD dst_unused:UNUSED_PAD src0_sel:DWORD src1_sel:WORD_1
	v_mul_f16_sdwa v34, v99, v106 dst_sel:DWORD dst_unused:UNUSED_PAD src0_sel:DWORD src1_sel:WORD_1
	v_fma_f16 v29, v99, v106, -v29
	v_fma_f16 v28, v28, v106, v34
	v_pack_b32_f16 v28, v29, v28
	ds_write_b32 v8, v28 offset:2464
	s_waitcnt lgkmcnt(0)
	; wave barrier
	s_waitcnt lgkmcnt(0)
	ds_read2_b32 v[28:29], v8 offset1:56
	ds_read2_b32 v[34:35], v31 offset0:80 offset1:136
	ds_read2_b32 v[38:39], v8 offset0:112 offset1:168
	;; [unrolled: 1-line block ×3, first 2 shown]
	s_waitcnt lgkmcnt(2)
	v_pk_add_f16 v37, v28, v34 neg_lo:[0,1] neg_hi:[0,1]
	v_pk_add_f16 v35, v29, v35 neg_lo:[0,1] neg_hi:[0,1]
	v_pk_fma_f16 v36, v28, 2.0, v37 op_sel_hi:[1,0,1] neg_lo:[0,0,1] neg_hi:[0,0,1]
	v_pk_fma_f16 v34, v29, 2.0, v35 op_sel_hi:[1,0,1] neg_lo:[0,0,1] neg_hi:[0,0,1]
	ds_read2_b32 v[28:29], v32 offset0:96 offset1:152
	ds_read2_b32 v[100:101], v26 offset0:48 offset1:104
	s_waitcnt lgkmcnt(2)
	v_pk_add_f16 v99, v39, v99 neg_lo:[0,1] neg_hi:[0,1]
	v_pk_add_f16 v103, v38, v98 neg_lo:[0,1] neg_hi:[0,1]
	v_pk_fma_f16 v98, v39, 2.0, v99 op_sel_hi:[1,0,1] neg_lo:[0,0,1] neg_hi:[0,0,1]
	v_pk_fma_f16 v102, v38, 2.0, v103 op_sel_hi:[1,0,1] neg_lo:[0,0,1] neg_hi:[0,0,1]
	s_waitcnt lgkmcnt(0)
	v_pk_add_f16 v39, v28, v100 neg_lo:[0,1] neg_hi:[0,1]
	v_pk_add_f16 v101, v29, v101 neg_lo:[0,1] neg_hi:[0,1]
	v_pk_fma_f16 v38, v28, 2.0, v39 op_sel_hi:[1,0,1] neg_lo:[0,0,1] neg_hi:[0,0,1]
	v_pk_fma_f16 v100, v29, 2.0, v101 op_sel_hi:[1,0,1] neg_lo:[0,0,1] neg_hi:[0,0,1]
	s_waitcnt lgkmcnt(0)
	; wave barrier
	ds_write_b64 v52, v[36:37]
	ds_write_b64 v54, v[34:35]
	;; [unrolled: 1-line block ×6, first 2 shown]
	s_waitcnt lgkmcnt(0)
	; wave barrier
	s_waitcnt lgkmcnt(0)
	ds_read2_b32 v[28:29], v8 offset1:56
	ds_read2_b32 v[34:35], v31 offset0:80 offset1:136
	ds_read2_b32 v[38:39], v31 offset0:192 offset1:248
	;; [unrolled: 1-line block ×5, first 2 shown]
	s_waitcnt lgkmcnt(5)
	v_lshrrev_b32_e32 v52, 16, v28
	s_waitcnt lgkmcnt(4)
	v_lshrrev_b32_e32 v54, 16, v34
	v_mul_f16_sdwa v105, v53, v54 dst_sel:DWORD dst_unused:UNUSED_PAD src0_sel:WORD_1 src1_sel:DWORD
	v_lshrrev_b32_e32 v77, 16, v35
	v_fma_f16 v105, v53, v34, v105
	v_mul_f16_sdwa v34, v53, v34 dst_sel:DWORD dst_unused:UNUSED_PAD src0_sel:WORD_1 src1_sel:DWORD
	v_fma_f16 v34, v53, v54, -v34
	v_mul_f16_sdwa v54, v53, v77 dst_sel:DWORD dst_unused:UNUSED_PAD src0_sel:WORD_1 src1_sel:DWORD
	s_waitcnt lgkmcnt(3)
	v_lshrrev_b32_e32 v98, 16, v38
	v_fma_f16 v54, v53, v35, v54
	v_mul_f16_sdwa v35, v53, v35 dst_sel:DWORD dst_unused:UNUSED_PAD src0_sel:WORD_1 src1_sel:DWORD
	v_fma_f16 v35, v53, v77, -v35
	v_mul_f16_sdwa v77, v53, v98 dst_sel:DWORD dst_unused:UNUSED_PAD src0_sel:WORD_1 src1_sel:DWORD
	v_lshrrev_b32_e32 v100, 16, v39
	v_fma_f16 v77, v53, v38, v77
	v_mul_f16_sdwa v38, v53, v38 dst_sel:DWORD dst_unused:UNUSED_PAD src0_sel:WORD_1 src1_sel:DWORD
	v_fma_f16 v38, v53, v98, -v38
	v_mul_f16_sdwa v98, v53, v100 dst_sel:DWORD dst_unused:UNUSED_PAD src0_sel:WORD_1 src1_sel:DWORD
	s_waitcnt lgkmcnt(0)
	v_lshrrev_b32_e32 v102, 16, v96
	v_fma_f16 v98, v53, v39, v98
	v_mul_f16_sdwa v39, v53, v39 dst_sel:DWORD dst_unused:UNUSED_PAD src0_sel:WORD_1 src1_sel:DWORD
	v_fma_f16 v39, v53, v100, -v39
	v_mul_f16_sdwa v100, v53, v102 dst_sel:DWORD dst_unused:UNUSED_PAD src0_sel:WORD_1 src1_sel:DWORD
	v_lshrrev_b32_e32 v104, 16, v97
	v_fma_f16 v100, v53, v96, v100
	v_mul_f16_sdwa v96, v53, v96 dst_sel:DWORD dst_unused:UNUSED_PAD src0_sel:WORD_1 src1_sel:DWORD
	v_fma_f16 v96, v53, v102, -v96
	v_mul_f16_sdwa v102, v53, v104 dst_sel:DWORD dst_unused:UNUSED_PAD src0_sel:WORD_1 src1_sel:DWORD
	v_fma_f16 v102, v53, v97, v102
	v_mul_f16_sdwa v97, v53, v97 dst_sel:DWORD dst_unused:UNUSED_PAD src0_sel:WORD_1 src1_sel:DWORD
	v_lshrrev_b32_e32 v72, 16, v29
	v_fma_f16 v53, v53, v104, -v97
	v_sub_f16_e32 v97, v28, v105
	v_sub_f16_e32 v34, v52, v34
	v_lshrrev_b32_e32 v93, 16, v36
	v_fma_f16 v28, v28, 2.0, -v97
	v_fma_f16 v52, v52, 2.0, -v34
	v_sub_f16_e32 v54, v29, v54
	v_sub_f16_e32 v35, v72, v35
	v_lshrrev_b32_e32 v99, 16, v37
	v_fma_f16 v29, v29, 2.0, -v54
	v_fma_f16 v72, v72, 2.0, -v35
	v_sub_f16_e32 v77, v36, v77
	v_sub_f16_e32 v38, v93, v38
	v_pack_b32_f16 v28, v28, v52
	v_pack_b32_f16 v34, v97, v34
	v_lshrrev_b32_e32 v101, 16, v94
	v_fma_f16 v36, v36, 2.0, -v77
	v_fma_f16 v93, v93, 2.0, -v38
	v_sub_f16_e32 v98, v37, v98
	v_sub_f16_e32 v39, v99, v39
	s_waitcnt lgkmcnt(0)
	; wave barrier
	ds_write2_b32 v55, v28, v34 offset1:2
	v_pack_b32_f16 v28, v29, v72
	v_pack_b32_f16 v29, v54, v35
	v_lshrrev_b32_e32 v103, 16, v95
	v_fma_f16 v37, v37, 2.0, -v98
	v_fma_f16 v99, v99, 2.0, -v39
	v_sub_f16_e32 v100, v94, v100
	v_sub_f16_e32 v96, v101, v96
	ds_write2_b32 v57, v28, v29 offset1:2
	v_pack_b32_f16 v28, v36, v93
	v_pack_b32_f16 v29, v77, v38
	v_fma_f16 v94, v94, 2.0, -v100
	v_fma_f16 v101, v101, 2.0, -v96
	v_sub_f16_e32 v102, v95, v102
	v_sub_f16_e32 v53, v103, v53
	ds_write2_b32 v58, v28, v29 offset1:2
	v_pack_b32_f16 v28, v37, v99
	v_pack_b32_f16 v29, v98, v39
	v_fma_f16 v95, v95, 2.0, -v102
	v_fma_f16 v103, v103, 2.0, -v53
	ds_write2_b32 v59, v28, v29 offset1:2
	v_pack_b32_f16 v28, v94, v101
	v_pack_b32_f16 v29, v100, v96
	ds_write2_b32 v60, v28, v29 offset1:2
	v_pack_b32_f16 v28, v95, v103
	v_pack_b32_f16 v29, v102, v53
	ds_write2_b32 v61, v28, v29 offset1:2
	s_waitcnt lgkmcnt(0)
	; wave barrier
	s_waitcnt lgkmcnt(0)
	ds_read2_b32 v[28:29], v8 offset1:56
	ds_read2_b32 v[34:35], v31 offset0:80 offset1:136
	ds_read2_b32 v[38:39], v31 offset0:192 offset1:248
	;; [unrolled: 1-line block ×5, first 2 shown]
	s_waitcnt lgkmcnt(5)
	v_lshrrev_b32_e32 v57, 16, v28
	s_waitcnt lgkmcnt(4)
	v_lshrrev_b32_e32 v58, 16, v34
	v_mul_f16_sdwa v98, v56, v58 dst_sel:DWORD dst_unused:UNUSED_PAD src0_sel:WORD_1 src1_sel:DWORD
	v_lshrrev_b32_e32 v60, 16, v35
	v_fma_f16 v98, v56, v34, v98
	v_mul_f16_sdwa v34, v56, v34 dst_sel:DWORD dst_unused:UNUSED_PAD src0_sel:WORD_1 src1_sel:DWORD
	v_fma_f16 v34, v56, v58, -v34
	v_mul_f16_sdwa v58, v56, v60 dst_sel:DWORD dst_unused:UNUSED_PAD src0_sel:WORD_1 src1_sel:DWORD
	s_waitcnt lgkmcnt(3)
	v_lshrrev_b32_e32 v72, 16, v38
	v_fma_f16 v58, v56, v35, v58
	v_mul_f16_sdwa v35, v56, v35 dst_sel:DWORD dst_unused:UNUSED_PAD src0_sel:WORD_1 src1_sel:DWORD
	v_fma_f16 v35, v56, v60, -v35
	v_mul_f16_sdwa v60, v56, v72 dst_sel:DWORD dst_unused:UNUSED_PAD src0_sel:WORD_1 src1_sel:DWORD
	v_lshrrev_b32_e32 v93, 16, v39
	v_fma_f16 v60, v56, v38, v60
	v_mul_f16_sdwa v38, v56, v38 dst_sel:DWORD dst_unused:UNUSED_PAD src0_sel:WORD_1 src1_sel:DWORD
	v_fma_f16 v38, v56, v72, -v38
	v_mul_f16_sdwa v72, v56, v93 dst_sel:DWORD dst_unused:UNUSED_PAD src0_sel:WORD_1 src1_sel:DWORD
	s_waitcnt lgkmcnt(0)
	v_lshrrev_b32_e32 v95, 16, v54
	v_fma_f16 v72, v56, v39, v72
	v_mul_f16_sdwa v39, v56, v39 dst_sel:DWORD dst_unused:UNUSED_PAD src0_sel:WORD_1 src1_sel:DWORD
	v_fma_f16 v39, v56, v93, -v39
	v_mul_f16_sdwa v93, v56, v95 dst_sel:DWORD dst_unused:UNUSED_PAD src0_sel:WORD_1 src1_sel:DWORD
	v_lshrrev_b32_e32 v97, 16, v55
	v_fma_f16 v93, v56, v54, v93
	v_mul_f16_sdwa v54, v56, v54 dst_sel:DWORD dst_unused:UNUSED_PAD src0_sel:WORD_1 src1_sel:DWORD
	v_fma_f16 v54, v56, v95, -v54
	v_mul_f16_sdwa v95, v56, v97 dst_sel:DWORD dst_unused:UNUSED_PAD src0_sel:WORD_1 src1_sel:DWORD
	v_fma_f16 v95, v56, v55, v95
	v_mul_f16_sdwa v55, v56, v55 dst_sel:DWORD dst_unused:UNUSED_PAD src0_sel:WORD_1 src1_sel:DWORD
	v_lshrrev_b32_e32 v59, 16, v29
	v_fma_f16 v55, v56, v97, -v55
	v_sub_f16_e32 v56, v28, v98
	v_sub_f16_e32 v34, v57, v34
	v_lshrrev_b32_e32 v61, 16, v36
	v_fma_f16 v28, v28, 2.0, -v56
	v_fma_f16 v57, v57, 2.0, -v34
	v_sub_f16_e32 v58, v29, v58
	v_sub_f16_e32 v35, v59, v35
	v_lshrrev_b32_e32 v77, 16, v37
	v_fma_f16 v29, v29, 2.0, -v58
	v_fma_f16 v59, v59, 2.0, -v35
	v_sub_f16_e32 v60, v36, v60
	v_sub_f16_e32 v38, v61, v38
	v_pack_b32_f16 v28, v28, v57
	v_pack_b32_f16 v34, v56, v34
	v_lshrrev_b32_e32 v94, 16, v52
	v_fma_f16 v36, v36, 2.0, -v60
	v_fma_f16 v61, v61, 2.0, -v38
	v_sub_f16_e32 v72, v37, v72
	v_sub_f16_e32 v39, v77, v39
	s_waitcnt lgkmcnt(0)
	; wave barrier
	ds_write2_b32 v62, v28, v34 offset1:4
	v_pack_b32_f16 v28, v29, v59
	v_pack_b32_f16 v29, v58, v35
	v_lshrrev_b32_e32 v96, 16, v53
	v_fma_f16 v37, v37, 2.0, -v72
	v_fma_f16 v77, v77, 2.0, -v39
	v_sub_f16_e32 v93, v52, v93
	v_sub_f16_e32 v54, v94, v54
	ds_write2_b32 v63, v28, v29 offset1:4
	v_pack_b32_f16 v28, v36, v61
	v_pack_b32_f16 v29, v60, v38
	v_fma_f16 v52, v52, 2.0, -v93
	v_fma_f16 v94, v94, 2.0, -v54
	v_sub_f16_e32 v95, v53, v95
	v_sub_f16_e32 v55, v96, v55
	ds_write2_b32 v64, v28, v29 offset1:4
	v_pack_b32_f16 v28, v37, v77
	v_pack_b32_f16 v29, v72, v39
	v_fma_f16 v53, v53, 2.0, -v95
	v_fma_f16 v96, v96, 2.0, -v55
	ds_write2_b32 v66, v28, v29 offset1:4
	v_pack_b32_f16 v28, v52, v94
	v_pack_b32_f16 v29, v93, v54
	ds_write2_b32 v67, v28, v29 offset1:4
	v_pack_b32_f16 v28, v53, v96
	v_pack_b32_f16 v29, v95, v55
	ds_write2_b32 v68, v28, v29 offset1:4
	s_waitcnt lgkmcnt(0)
	; wave barrier
	s_waitcnt lgkmcnt(0)
	ds_read2_b32 v[28:29], v8 offset1:56
	ds_read2_b32 v[34:35], v31 offset0:80 offset1:136
	ds_read2_b32 v[38:39], v31 offset0:192 offset1:248
	;; [unrolled: 1-line block ×5, first 2 shown]
	s_waitcnt lgkmcnt(5)
	v_lshrrev_b32_e32 v56, 16, v28
	s_waitcnt lgkmcnt(4)
	v_lshrrev_b32_e32 v57, 16, v34
	v_mul_f16_sdwa v72, v65, v57 dst_sel:DWORD dst_unused:UNUSED_PAD src0_sel:WORD_1 src1_sel:DWORD
	v_lshrrev_b32_e32 v59, 16, v35
	v_fma_f16 v72, v65, v34, v72
	v_mul_f16_sdwa v34, v65, v34 dst_sel:DWORD dst_unused:UNUSED_PAD src0_sel:WORD_1 src1_sel:DWORD
	v_fma_f16 v34, v65, v57, -v34
	v_mul_f16_sdwa v57, v65, v59 dst_sel:DWORD dst_unused:UNUSED_PAD src0_sel:WORD_1 src1_sel:DWORD
	s_waitcnt lgkmcnt(3)
	v_lshrrev_b32_e32 v61, 16, v38
	v_fma_f16 v57, v65, v35, v57
	v_mul_f16_sdwa v35, v65, v35 dst_sel:DWORD dst_unused:UNUSED_PAD src0_sel:WORD_1 src1_sel:DWORD
	v_fma_f16 v35, v65, v59, -v35
	v_mul_f16_sdwa v59, v65, v61 dst_sel:DWORD dst_unused:UNUSED_PAD src0_sel:WORD_1 src1_sel:DWORD
	v_lshrrev_b32_e32 v63, 16, v39
	v_fma_f16 v59, v65, v38, v59
	v_mul_f16_sdwa v38, v65, v38 dst_sel:DWORD dst_unused:UNUSED_PAD src0_sel:WORD_1 src1_sel:DWORD
	v_fma_f16 v38, v65, v61, -v38
	v_mul_f16_sdwa v61, v65, v63 dst_sel:DWORD dst_unused:UNUSED_PAD src0_sel:WORD_1 src1_sel:DWORD
	s_waitcnt lgkmcnt(0)
	v_lshrrev_b32_e32 v66, 16, v54
	v_fma_f16 v61, v65, v39, v61
	v_mul_f16_sdwa v39, v65, v39 dst_sel:DWORD dst_unused:UNUSED_PAD src0_sel:WORD_1 src1_sel:DWORD
	v_fma_f16 v39, v65, v63, -v39
	v_mul_f16_sdwa v63, v65, v66 dst_sel:DWORD dst_unused:UNUSED_PAD src0_sel:WORD_1 src1_sel:DWORD
	v_lshrrev_b32_e32 v68, 16, v55
	v_fma_f16 v63, v65, v54, v63
	v_mul_f16_sdwa v54, v65, v54 dst_sel:DWORD dst_unused:UNUSED_PAD src0_sel:WORD_1 src1_sel:DWORD
	v_fma_f16 v54, v65, v66, -v54
	v_mul_f16_sdwa v66, v65, v68 dst_sel:DWORD dst_unused:UNUSED_PAD src0_sel:WORD_1 src1_sel:DWORD
	v_fma_f16 v66, v65, v55, v66
	v_mul_f16_sdwa v55, v65, v55 dst_sel:DWORD dst_unused:UNUSED_PAD src0_sel:WORD_1 src1_sel:DWORD
	v_lshrrev_b32_e32 v58, 16, v29
	v_fma_f16 v55, v65, v68, -v55
	v_sub_f16_e32 v65, v28, v72
	v_sub_f16_e32 v34, v56, v34
	v_lshrrev_b32_e32 v60, 16, v36
	v_fma_f16 v28, v28, 2.0, -v65
	v_fma_f16 v56, v56, 2.0, -v34
	v_sub_f16_e32 v57, v29, v57
	v_sub_f16_e32 v35, v58, v35
	v_lshrrev_b32_e32 v62, 16, v37
	v_fma_f16 v29, v29, 2.0, -v57
	v_fma_f16 v58, v58, 2.0, -v35
	v_sub_f16_e32 v59, v36, v59
	v_sub_f16_e32 v38, v60, v38
	v_pack_b32_f16 v28, v28, v56
	v_pack_b32_f16 v34, v65, v34
	v_lshrrev_b32_e32 v64, 16, v52
	v_fma_f16 v36, v36, 2.0, -v59
	v_fma_f16 v60, v60, 2.0, -v38
	v_sub_f16_e32 v61, v37, v61
	v_sub_f16_e32 v39, v62, v39
	s_waitcnt lgkmcnt(0)
	; wave barrier
	ds_write2_b32 v69, v28, v34 offset1:8
	v_pack_b32_f16 v28, v29, v58
	v_pack_b32_f16 v29, v57, v35
	v_lshrrev_b32_e32 v67, 16, v53
	v_fma_f16 v37, v37, 2.0, -v61
	v_fma_f16 v62, v62, 2.0, -v39
	v_sub_f16_e32 v63, v52, v63
	v_sub_f16_e32 v54, v64, v54
	ds_write2_b32 v70, v28, v29 offset1:8
	v_pack_b32_f16 v28, v36, v60
	v_pack_b32_f16 v29, v59, v38
	v_fma_f16 v52, v52, 2.0, -v63
	v_fma_f16 v64, v64, 2.0, -v54
	v_sub_f16_e32 v66, v53, v66
	v_sub_f16_e32 v55, v67, v55
	ds_write2_b32 v71, v28, v29 offset1:8
	v_pack_b32_f16 v28, v37, v62
	v_pack_b32_f16 v29, v61, v39
	v_fma_f16 v53, v53, 2.0, -v66
	v_fma_f16 v67, v67, 2.0, -v55
	ds_write2_b32 v73, v28, v29 offset1:8
	v_pack_b32_f16 v28, v52, v64
	v_pack_b32_f16 v29, v63, v54
	ds_write2_b32 v76, v28, v29 offset1:8
	v_pack_b32_f16 v28, v53, v67
	v_pack_b32_f16 v29, v66, v55
	ds_write2_b32 v79, v28, v29 offset1:8
	s_waitcnt lgkmcnt(0)
	; wave barrier
	s_waitcnt lgkmcnt(0)
	ds_read2_b32 v[28:29], v8 offset1:56
	ds_read2_b32 v[34:35], v31 offset0:80 offset1:136
	ds_read2_b32 v[38:39], v31 offset0:192 offset1:248
	;; [unrolled: 1-line block ×5, first 2 shown]
	s_waitcnt lgkmcnt(5)
	v_lshrrev_b32_e32 v56, 16, v28
	s_waitcnt lgkmcnt(4)
	v_lshrrev_b32_e32 v57, 16, v34
	v_mul_f16_sdwa v68, v74, v57 dst_sel:DWORD dst_unused:UNUSED_PAD src0_sel:WORD_1 src1_sel:DWORD
	v_lshrrev_b32_e32 v59, 16, v35
	v_fma_f16 v68, v74, v34, v68
	v_mul_f16_sdwa v34, v74, v34 dst_sel:DWORD dst_unused:UNUSED_PAD src0_sel:WORD_1 src1_sel:DWORD
	v_fma_f16 v34, v74, v57, -v34
	v_mul_f16_sdwa v57, v75, v59 dst_sel:DWORD dst_unused:UNUSED_PAD src0_sel:WORD_1 src1_sel:DWORD
	s_waitcnt lgkmcnt(3)
	v_lshrrev_b32_e32 v61, 16, v38
	v_fma_f16 v57, v78, v35, v57
	v_mul_f16_sdwa v35, v75, v35 dst_sel:DWORD dst_unused:UNUSED_PAD src0_sel:WORD_1 src1_sel:DWORD
	v_fma_f16 v35, v78, v59, -v35
	v_mul_f16_sdwa v59, v74, v61 dst_sel:DWORD dst_unused:UNUSED_PAD src0_sel:WORD_1 src1_sel:DWORD
	v_lshrrev_b32_e32 v63, 16, v39
	v_fma_f16 v59, v74, v38, v59
	v_mul_f16_sdwa v38, v74, v38 dst_sel:DWORD dst_unused:UNUSED_PAD src0_sel:WORD_1 src1_sel:DWORD
	v_fma_f16 v38, v74, v61, -v38
	v_mul_f16_e32 v61, v80, v63
	s_waitcnt lgkmcnt(0)
	v_lshrrev_b32_e32 v65, 16, v54
	v_fma_f16 v61, v83, v39, v61
	v_mul_f16_e32 v39, v80, v39
	v_fma_f16 v39, v83, v63, -v39
	v_mul_f16_sdwa v63, v74, v65 dst_sel:DWORD dst_unused:UNUSED_PAD src0_sel:WORD_1 src1_sel:DWORD
	v_lshrrev_b32_e32 v67, 16, v55
	v_fma_f16 v63, v74, v54, v63
	v_mul_f16_sdwa v54, v74, v54 dst_sel:DWORD dst_unused:UNUSED_PAD src0_sel:WORD_1 src1_sel:DWORD
	v_fma_f16 v54, v74, v65, -v54
	v_mul_f16_e32 v65, v82, v67
	v_fma_f16 v65, v75, v55, v65
	v_mul_f16_e32 v55, v82, v55
	v_lshrrev_b32_e32 v58, 16, v29
	v_fma_f16 v55, v75, v67, -v55
	v_sub_f16_e32 v67, v28, v68
	v_sub_f16_e32 v34, v56, v34
	v_lshrrev_b32_e32 v60, 16, v36
	v_fma_f16 v28, v28, 2.0, -v67
	v_fma_f16 v56, v56, 2.0, -v34
	v_sub_f16_e32 v57, v29, v57
	v_sub_f16_e32 v35, v58, v35
	v_lshrrev_b32_e32 v62, 16, v37
	v_fma_f16 v29, v29, 2.0, -v57
	v_fma_f16 v58, v58, 2.0, -v35
	v_sub_f16_e32 v59, v36, v59
	v_sub_f16_e32 v38, v60, v38
	v_pack_b32_f16 v28, v28, v56
	v_pack_b32_f16 v34, v67, v34
	v_lshrrev_b32_e32 v64, 16, v52
	v_fma_f16 v36, v36, 2.0, -v59
	v_fma_f16 v60, v60, 2.0, -v38
	v_sub_f16_e32 v61, v37, v61
	v_sub_f16_e32 v39, v62, v39
	s_waitcnt lgkmcnt(0)
	; wave barrier
	ds_write2_b32 v81, v28, v34 offset1:16
	v_pack_b32_f16 v28, v29, v58
	v_pack_b32_f16 v29, v57, v35
	v_lshrrev_b32_e32 v66, 16, v53
	v_fma_f16 v37, v37, 2.0, -v61
	v_fma_f16 v62, v62, 2.0, -v39
	v_sub_f16_e32 v63, v52, v63
	v_sub_f16_e32 v54, v64, v54
	ds_write2_b32 v84, v28, v29 offset1:16
	v_pack_b32_f16 v28, v36, v60
	v_pack_b32_f16 v29, v59, v38
	v_fma_f16 v52, v52, 2.0, -v63
	v_fma_f16 v64, v64, 2.0, -v54
	v_sub_f16_e32 v65, v53, v65
	v_sub_f16_e32 v55, v66, v55
	ds_write2_b32 v85, v28, v29 offset1:16
	v_pack_b32_f16 v28, v37, v62
	v_pack_b32_f16 v29, v61, v39
	v_fma_f16 v53, v53, 2.0, -v65
	v_fma_f16 v66, v66, 2.0, -v55
	ds_write2_b32 v86, v28, v29 offset1:16
	v_pack_b32_f16 v28, v52, v64
	v_pack_b32_f16 v29, v63, v54
	ds_write2_b32 v87, v28, v29 offset1:16
	v_pack_b32_f16 v28, v53, v66
	v_pack_b32_f16 v29, v65, v55
	ds_write2_b32 v88, v28, v29 offset1:16
	s_waitcnt lgkmcnt(0)
	; wave barrier
	s_waitcnt lgkmcnt(0)
	ds_read2_b32 v[28:29], v8 offset1:56
	ds_read2_b32 v[34:35], v32 offset0:96 offset1:152
	ds_read2_b32 v[36:37], v31 offset0:192 offset1:248
	;; [unrolled: 1-line block ×5, first 2 shown]
	s_waitcnt lgkmcnt(0)
	v_lshrrev_b32_e32 v56, 16, v28
	v_lshrrev_b32_e32 v57, 16, v34
	v_mul_f16_sdwa v67, v22, v57 dst_sel:DWORD dst_unused:UNUSED_PAD src0_sel:WORD_1 src1_sel:DWORD
	v_lshrrev_b32_e32 v58, 16, v36
	v_fma_f16 v67, v22, v34, v67
	v_mul_f16_sdwa v34, v22, v34 dst_sel:DWORD dst_unused:UNUSED_PAD src0_sel:WORD_1 src1_sel:DWORD
	v_fma_f16 v22, v22, v57, -v34
	v_mul_f16_sdwa v34, v23, v58 dst_sel:DWORD dst_unused:UNUSED_PAD src0_sel:WORD_1 src1_sel:DWORD
	v_lshrrev_b32_e32 v26, 16, v35
	v_fma_f16 v34, v23, v36, v34
	v_mul_f16_sdwa v36, v23, v36 dst_sel:DWORD dst_unused:UNUSED_PAD src0_sel:WORD_1 src1_sel:DWORD
	v_fma_f16 v23, v23, v58, -v36
	v_mul_f16_sdwa v36, v20, v26 dst_sel:DWORD dst_unused:UNUSED_PAD src0_sel:WORD_1 src1_sel:DWORD
	v_lshrrev_b32_e32 v60, 16, v37
	v_fma_f16 v36, v20, v35, v36
	v_mul_f16_sdwa v35, v20, v35 dst_sel:DWORD dst_unused:UNUSED_PAD src0_sel:WORD_1 src1_sel:DWORD
	v_lshrrev_b32_e32 v62, 16, v52
	v_fma_f16 v20, v20, v26, -v35
	v_mul_f16_sdwa v26, v21, v60 dst_sel:DWORD dst_unused:UNUSED_PAD src0_sel:WORD_1 src1_sel:DWORD
	v_mul_f16_sdwa v35, v21, v37 dst_sel:DWORD dst_unused:UNUSED_PAD src0_sel:WORD_1 src1_sel:DWORD
	v_lshrrev_b32_e32 v63, 16, v54
	v_fma_f16 v26, v21, v37, v26
	v_fma_f16 v21, v21, v60, -v35
	v_mul_f16_sdwa v35, v14, v62 dst_sel:DWORD dst_unused:UNUSED_PAD src0_sel:WORD_1 src1_sel:DWORD
	v_mul_f16_sdwa v37, v14, v52 dst_sel:DWORD dst_unused:UNUSED_PAD src0_sel:WORD_1 src1_sel:DWORD
	v_fma_f16 v35, v14, v52, v35
	v_fma_f16 v37, v14, v62, -v37
	v_mul_f16_sdwa v14, v15, v63 dst_sel:DWORD dst_unused:UNUSED_PAD src0_sel:WORD_1 src1_sel:DWORD
	v_lshrrev_b32_e32 v65, 16, v53
	v_fma_f16 v52, v15, v54, v14
	v_mul_f16_sdwa v14, v15, v54 dst_sel:DWORD dst_unused:UNUSED_PAD src0_sel:WORD_1 src1_sel:DWORD
	v_fma_f16 v54, v15, v63, -v14
	v_mul_f16_sdwa v14, v16, v65 dst_sel:DWORD dst_unused:UNUSED_PAD src0_sel:WORD_1 src1_sel:DWORD
	v_lshrrev_b32_e32 v66, 16, v55
	v_fma_f16 v57, v16, v53, v14
	v_mul_f16_sdwa v14, v16, v53 dst_sel:DWORD dst_unused:UNUSED_PAD src0_sel:WORD_1 src1_sel:DWORD
	v_fma_f16 v53, v16, v65, -v14
	v_mul_f16_sdwa v14, v17, v66 dst_sel:DWORD dst_unused:UNUSED_PAD src0_sel:WORD_1 src1_sel:DWORD
	v_fma_f16 v58, v17, v55, v14
	v_mul_f16_sdwa v14, v17, v55 dst_sel:DWORD dst_unused:UNUSED_PAD src0_sel:WORD_1 src1_sel:DWORD
	v_fma_f16 v55, v17, v66, -v14
	v_add_f16_e32 v14, v28, v67
	v_add_f16_e32 v60, v14, v34
	;; [unrolled: 1-line block ×3, first 2 shown]
	v_fma_f16 v14, v14, -0.5, v28
	v_sub_f16_e32 v15, v22, v23
	v_fma_f16 v28, v15, s2, v14
	v_fma_f16 v62, v15, s3, v14
	v_add_f16_e32 v14, v56, v22
	v_add_f16_e32 v63, v14, v23
	;; [unrolled: 1-line block ×3, first 2 shown]
	v_fma_f16 v14, v14, -0.5, v56
	v_sub_f16_e32 v15, v67, v34
	v_fma_f16 v22, v15, s3, v14
	v_fma_f16 v23, v15, s2, v14
	v_add_f16_e32 v14, v29, v36
	v_add_f16_e32 v56, v14, v26
	;; [unrolled: 1-line block ×3, first 2 shown]
	v_lshrrev_b32_e32 v59, 16, v29
	v_fma_f16 v14, v14, -0.5, v29
	v_sub_f16_e32 v15, v20, v21
	v_fma_f16 v29, v15, s2, v14
	v_fma_f16 v65, v15, s3, v14
	v_add_f16_e32 v14, v59, v20
	v_add_f16_e32 v66, v14, v21
	;; [unrolled: 1-line block ×3, first 2 shown]
	v_fma_f16 v14, v14, -0.5, v59
	v_sub_f16_e32 v15, v36, v26
	v_fma_f16 v20, v15, s3, v14
	v_fma_f16 v21, v15, s2, v14
	v_add_f16_e32 v14, v38, v35
	v_add_f16_e32 v59, v14, v52
	;; [unrolled: 1-line block ×3, first 2 shown]
	v_lshrrev_b32_e32 v61, 16, v38
	v_fma_f16 v15, v14, -0.5, v38
	v_sub_f16_e32 v16, v37, v54
	v_fma_f16 v14, v16, s2, v15
	v_fma_f16 v15, v16, s3, v15
	v_add_f16_e32 v16, v61, v37
	v_add_f16_e32 v67, v16, v54
	;; [unrolled: 1-line block ×3, first 2 shown]
	v_fma_f16 v16, v16, -0.5, v61
	v_sub_f16_e32 v17, v35, v52
	v_lshrrev_b32_e32 v64, 16, v39
	v_fma_f16 v34, v17, s3, v16
	v_fma_f16 v36, v17, s2, v16
	v_add_f16_e32 v17, v57, v58
	v_add_f16_e32 v37, v53, v55
	;; [unrolled: 1-line block ×3, first 2 shown]
	v_fma_f16 v26, v17, -0.5, v39
	v_fma_f16 v37, v37, -0.5, v64
	v_sub_f16_e32 v39, v57, v58
	v_fma_f16 v38, v39, s3, v37
	v_fma_f16 v37, v39, s2, v37
	v_pack_b32_f16 v39, v60, v63
	v_pack_b32_f16 v22, v28, v22
	; wave barrier
	ds_write2_b32 v89, v39, v22 offset1:32
	v_pack_b32_f16 v22, v62, v23
	ds_write_b32 v89, v22 offset:256
	v_pack_b32_f16 v22, v56, v66
	v_pack_b32_f16 v20, v29, v20
	v_sub_f16_e32 v35, v53, v55
	ds_write2_b32 v90, v22, v20 offset1:32
	v_pack_b32_f16 v20, v65, v21
	v_fma_f16 v17, v35, s2, v26
	v_fma_f16 v26, v35, s3, v26
	v_add_f16_e32 v35, v64, v53
	ds_write_b32 v90, v20 offset:256
	v_pack_b32_f16 v20, v59, v67
	v_pack_b32_f16 v21, v14, v34
	v_add_f16_e32 v16, v16, v58
	v_add_f16_e32 v35, v35, v55
	ds_write2_b32 v91, v20, v21 offset1:32
	v_pack_b32_f16 v20, v15, v36
	ds_write_b32 v91, v20 offset:256
	v_pack_b32_f16 v20, v16, v35
	v_pack_b32_f16 v21, v17, v38
	ds_write2_b32 v92, v20, v21 offset1:32
	v_pack_b32_f16 v20, v26, v37
	ds_write_b32 v92, v20 offset:256
	s_waitcnt lgkmcnt(0)
	; wave barrier
	s_waitcnt lgkmcnt(0)
	ds_read2_b32 v[20:21], v8 offset1:96
	ds_read2_b32 v[28:29], v32 offset0:64 offset1:160
	ds_read2_b32 v[22:23], v31 offset0:128 offset1:224
	ds_read_b32 v39, v8 offset:2304
	s_and_saveexec_b64 s[2:3], vcc
	s_cbranch_execz .LBB0_7
; %bb.6:
	ds_read2_b32 v[14:15], v8 offset0:56 offset1:152
	ds_read2_b32 v[16:17], v32 offset0:120 offset1:216
	;; [unrolled: 1-line block ×3, first 2 shown]
	ds_read_b32 v11, v8 offset:2528
	s_waitcnt lgkmcnt(3)
	v_lshrrev_b32_e32 v34, 16, v14
	v_lshrrev_b32_e32 v36, 16, v15
	s_waitcnt lgkmcnt(2)
	v_lshrrev_b32_e32 v35, 16, v16
	v_lshrrev_b32_e32 v38, 16, v17
	;; [unrolled: 3-line block ×3, first 2 shown]
	s_waitcnt lgkmcnt(0)
	v_lshrrev_b32_e32 v30, 16, v11
.LBB0_7:
	s_or_b64 exec, exec, s[2:3]
	s_waitcnt lgkmcnt(3)
	v_lshrrev_b32_e32 v33, 16, v21
	v_mul_f16_sdwa v57, v4, v33 dst_sel:DWORD dst_unused:UNUSED_PAD src0_sel:WORD_1 src1_sel:DWORD
	s_waitcnt lgkmcnt(2)
	v_lshrrev_b32_e32 v52, 16, v28
	v_fma_f16 v57, v4, v21, v57
	v_mul_f16_sdwa v21, v4, v21 dst_sel:DWORD dst_unused:UNUSED_PAD src0_sel:WORD_1 src1_sel:DWORD
	v_fma_f16 v4, v4, v33, -v21
	v_mul_f16_sdwa v21, v5, v52 dst_sel:DWORD dst_unused:UNUSED_PAD src0_sel:WORD_1 src1_sel:DWORD
	v_lshrrev_b32_e32 v53, 16, v29
	v_fma_f16 v21, v5, v28, v21
	v_mul_f16_sdwa v28, v5, v28 dst_sel:DWORD dst_unused:UNUSED_PAD src0_sel:WORD_1 src1_sel:DWORD
	v_fma_f16 v5, v5, v52, -v28
	v_mul_f16_sdwa v28, v6, v53 dst_sel:DWORD dst_unused:UNUSED_PAD src0_sel:WORD_1 src1_sel:DWORD
	s_waitcnt lgkmcnt(1)
	v_lshrrev_b32_e32 v54, 16, v22
	v_fma_f16 v28, v6, v29, v28
	v_mul_f16_sdwa v29, v6, v29 dst_sel:DWORD dst_unused:UNUSED_PAD src0_sel:WORD_1 src1_sel:DWORD
	v_fma_f16 v6, v6, v53, -v29
	v_mul_f16_sdwa v29, v7, v54 dst_sel:DWORD dst_unused:UNUSED_PAD src0_sel:WORD_1 src1_sel:DWORD
	v_lshrrev_b32_e32 v55, 16, v23
	v_fma_f16 v29, v7, v22, v29
	v_mul_f16_sdwa v22, v7, v22 dst_sel:DWORD dst_unused:UNUSED_PAD src0_sel:WORD_1 src1_sel:DWORD
	v_fma_f16 v7, v7, v54, -v22
	v_mul_f16_sdwa v22, v24, v55 dst_sel:DWORD dst_unused:UNUSED_PAD src0_sel:WORD_1 src1_sel:DWORD
	s_waitcnt lgkmcnt(0)
	v_lshrrev_b32_e32 v56, 16, v39
	v_fma_f16 v22, v24, v23, v22
	v_mul_f16_sdwa v23, v24, v23 dst_sel:DWORD dst_unused:UNUSED_PAD src0_sel:WORD_1 src1_sel:DWORD
	v_fma_f16 v23, v24, v55, -v23
	v_mul_f16_sdwa v24, v25, v56 dst_sel:DWORD dst_unused:UNUSED_PAD src0_sel:WORD_1 src1_sel:DWORD
	v_mul_f16_sdwa v33, v25, v39 dst_sel:DWORD dst_unused:UNUSED_PAD src0_sel:WORD_1 src1_sel:DWORD
	v_fma_f16 v24, v25, v39, v24
	v_fma_f16 v25, v25, v56, -v33
	v_add_f16_e32 v33, v57, v24
	v_add_f16_e32 v39, v4, v25
	v_sub_f16_e32 v4, v4, v25
	v_add_f16_e32 v25, v21, v22
	v_add_f16_e32 v52, v5, v23
	v_sub_f16_e32 v24, v57, v24
	v_sub_f16_e32 v21, v21, v22
	;; [unrolled: 1-line block ×3, first 2 shown]
	v_add_f16_e32 v22, v28, v29
	v_add_f16_e32 v23, v6, v7
	v_sub_f16_e32 v28, v29, v28
	v_sub_f16_e32 v6, v7, v6
	v_add_f16_e32 v7, v25, v33
	v_add_f16_e32 v29, v52, v39
	v_sub_f16_e32 v53, v25, v33
	v_sub_f16_e32 v54, v52, v39
	;; [unrolled: 1-line block ×6, first 2 shown]
	v_add_f16_e32 v55, v28, v21
	v_add_f16_e32 v56, v6, v5
	v_sub_f16_e32 v57, v28, v21
	v_sub_f16_e32 v58, v6, v5
	;; [unrolled: 1-line block ×4, first 2 shown]
	v_add_f16_e32 v7, v22, v7
	v_add_f16_e32 v22, v23, v29
	v_sub_f16_e32 v28, v24, v28
	v_sub_f16_e32 v6, v4, v6
	v_add_f16_e32 v23, v55, v24
	v_add_f16_e32 v4, v56, v4
	;; [unrolled: 1-line block ×3, first 2 shown]
	v_add_f16_sdwa v20, v20, v22 dst_sel:DWORD dst_unused:UNUSED_PAD src0_sel:WORD_1 src1_sel:DWORD
	v_mul_f16_e32 v29, 0x3a52, v33
	v_mul_f16_e32 v33, 0x3a52, v39
	s_movk_i32 s13, 0x2b26
	v_mul_f16_e32 v39, 0x2b26, v25
	v_mul_f16_e32 v55, 0x2b26, v52
	;; [unrolled: 1-line block ×4, first 2 shown]
	s_mov_b32 s8, 0xbb00
	v_mul_f16_e32 v58, 0xbb00, v21
	v_mul_f16_e32 v59, 0xbb00, v5
	s_mov_b32 s14, 0xbcab
	s_movk_i32 s9, 0x39e0
	s_mov_b32 s10, 0xb9e0
	s_mov_b32 s15, 0xb574
	s_movk_i32 s11, 0x3574
	v_fma_f16 v7, v7, s14, v24
	v_fma_f16 v22, v22, s14, v20
	;; [unrolled: 1-line block ×4, first 2 shown]
	v_fma_f16 v39, v53, s9, -v39
	v_fma_f16 v55, v54, s9, -v55
	;; [unrolled: 1-line block ×4, first 2 shown]
	v_fma_f16 v53, v28, s15, v56
	v_fma_f16 v54, v6, s15, v57
	v_fma_f16 v21, v21, s8, -v56
	v_fma_f16 v5, v5, s8, -v57
	;; [unrolled: 1-line block ×4, first 2 shown]
	s_mov_b32 s12, 0xb70e
	v_add_f16_e32 v25, v25, v7
	v_add_f16_e32 v52, v52, v22
	;; [unrolled: 1-line block ×6, first 2 shown]
	v_fma_f16 v29, v23, s12, v53
	v_fma_f16 v33, v4, s12, v54
	;; [unrolled: 1-line block ×6, first 2 shown]
	v_add_f16_e32 v6, v33, v25
	v_sub_f16_e32 v28, v52, v29
	v_add_f16_e32 v53, v4, v7
	v_sub_f16_e32 v56, v39, v5
	v_add_f16_e32 v57, v21, v55
	v_add_f16_e32 v5, v5, v39
	v_sub_f16_e32 v21, v55, v21
	v_sub_f16_e32 v4, v7, v4
	v_add_f16_e32 v7, v23, v22
	v_sub_f16_e32 v54, v22, v23
	v_sub_f16_e32 v22, v25, v33
	v_add_f16_e32 v23, v29, v52
	v_pack_b32_f16 v20, v24, v20
	v_pack_b32_f16 v6, v6, v28
	;; [unrolled: 1-line block ×4, first 2 shown]
	ds_write2_b32 v8, v20, v6 offset1:96
	v_pack_b32_f16 v6, v53, v54
	v_pack_b32_f16 v20, v56, v57
	ds_write2_b32 v31, v5, v4 offset0:128 offset1:224
	v_pack_b32_f16 v4, v22, v23
	ds_write2_b32 v32, v6, v20 offset0:64 offset1:160
	ds_write_b32 v8, v4 offset:2304
	s_and_saveexec_b64 s[2:3], vcc
	s_cbranch_execz .LBB0_9
; %bb.8:
	v_mul_f16_sdwa v20, v2, v38 dst_sel:DWORD dst_unused:UNUSED_PAD src0_sel:WORD_1 src1_sel:DWORD
	v_mul_f16_sdwa v4, v0, v36 dst_sel:DWORD dst_unused:UNUSED_PAD src0_sel:WORD_1 src1_sel:DWORD
	;; [unrolled: 1-line block ×4, first 2 shown]
	v_fma_f16 v20, v2, v17, v20
	v_mul_f16_sdwa v23, v1, v35 dst_sel:DWORD dst_unused:UNUSED_PAD src0_sel:WORD_1 src1_sel:DWORD
	v_mul_f16_sdwa v17, v2, v17 dst_sel:DWORD dst_unused:UNUSED_PAD src0_sel:WORD_1 src1_sel:DWORD
	v_fma_f16 v4, v0, v15, v4
	v_fma_f16 v5, v19, v11, v5
	;; [unrolled: 1-line block ×4, first 2 shown]
	v_mul_f16_sdwa v11, v19, v11 dst_sel:DWORD dst_unused:UNUSED_PAD src0_sel:WORD_1 src1_sel:DWORD
	v_mul_f16_sdwa v15, v0, v15 dst_sel:DWORD dst_unused:UNUSED_PAD src0_sel:WORD_1 src1_sel:DWORD
	v_fma_f16 v2, v2, v38, -v17
	v_mul_f16_sdwa v17, v3, v26 dst_sel:DWORD dst_unused:UNUSED_PAD src0_sel:WORD_1 src1_sel:DWORD
	v_mul_f16_sdwa v26, v18, v27 dst_sel:DWORD dst_unused:UNUSED_PAD src0_sel:WORD_1 src1_sel:DWORD
	;; [unrolled: 1-line block ×4, first 2 shown]
	v_fma_f16 v11, v19, v30, -v11
	v_fma_f16 v0, v0, v36, -v15
	;; [unrolled: 1-line block ×5, first 2 shown]
	v_fma_f16 v24, v18, v27, v24
	v_add_f16_e32 v15, v11, v0
	v_add_f16_e32 v17, v3, v2
	;; [unrolled: 1-line block ×3, first 2 shown]
	v_sub_f16_e32 v0, v0, v11
	v_sub_f16_e32 v2, v3, v2
	;; [unrolled: 1-line block ×6, first 2 shown]
	v_add_f16_e32 v4, v5, v4
	v_add_f16_e32 v5, v7, v20
	v_add_f16_e32 v20, v24, v23
	v_sub_f16_e32 v3, v0, v2
	v_sub_f16_e32 v9, v2, v1
	v_add_f16_e32 v2, v2, v1
	v_sub_f16_e32 v22, v6, v21
	v_sub_f16_e32 v28, v21, v25
	v_add_f16_e32 v21, v21, v25
	v_add_f16_e32 v27, v16, v15
	v_add_f16_e32 v31, v20, v4
	v_add_f16_e32 v2, v2, v0
	v_sub_f16_e32 v0, v1, v0
	v_add_f16_e32 v21, v21, v6
	v_sub_f16_e32 v19, v15, v17
	v_sub_f16_e32 v18, v17, v16
	v_add_f16_e32 v17, v17, v27
	v_sub_f16_e32 v7, v4, v5
	v_sub_f16_e32 v23, v5, v20
	v_add_f16_e32 v5, v5, v31
	v_mul_f16_e32 v9, 0x3846, v9
	v_sub_f16_e32 v6, v25, v6
	v_mul_f16_e32 v1, 0xbb00, v0
	v_mul_f16_e32 v28, 0x3846, v28
	;; [unrolled: 1-line block ×4, first 2 shown]
	v_add_f16_e32 v27, v34, v17
	v_mul_f16_e32 v7, 0x3a52, v7
	v_mul_f16_e32 v24, 0x2b26, v23
	v_add_f16_e32 v14, v14, v5
	v_fma_f16 v11, v3, s15, v9
	v_mul_f16_e32 v25, 0xbb00, v6
	v_sub_f16_e32 v15, v16, v15
	v_sub_f16_e32 v4, v20, v4
	v_fma_f16 v1, v3, s11, -v1
	v_fma_f16 v0, v0, s8, -v9
	v_fma_f16 v29, v22, s15, v28
	v_fma_f16 v18, v18, s13, v19
	;; [unrolled: 1-line block ×6, first 2 shown]
	v_fma_f16 v22, v22, s11, -v25
	v_fma_f16 v16, v15, s10, -v19
	;; [unrolled: 1-line block ×3, first 2 shown]
	v_fma_f16 v1, v2, s12, v1
	v_fma_f16 v15, v15, s9, -v26
	v_fma_f16 v6, v6, s8, -v28
	v_fma_f16 v0, v2, s12, v0
	v_fma_f16 v2, v4, s9, -v24
	v_fma_f16 v29, v21, s12, v29
	v_add_f16_e32 v18, v18, v17
	v_add_f16_e32 v23, v23, v5
	v_fma_f16 v22, v21, s12, v22
	v_add_f16_e32 v16, v16, v17
	v_add_f16_e32 v7, v7, v5
	;; [unrolled: 1-line block ×3, first 2 shown]
	v_fma_f16 v6, v21, s12, v6
	v_add_f16_e32 v2, v2, v5
	v_sub_f16_e32 v3, v7, v1
	v_sub_f16_e32 v17, v15, v6
	v_add_f16_e32 v4, v0, v2
	v_add_f16_e32 v5, v6, v15
	v_sub_f16_e32 v0, v2, v0
	v_sub_f16_e32 v2, v16, v22
	v_add_f16_e32 v1, v1, v7
	v_sub_f16_e32 v6, v18, v29
	v_add_f16_e32 v7, v11, v23
	v_add_f16_e32 v19, v22, v16
	v_pack_b32_f16 v9, v14, v27
	v_pack_b32_f16 v6, v7, v6
	;; [unrolled: 1-line block ×4, first 2 shown]
	v_add_u32_e32 v2, 0x200, v8
	v_add_f16_e32 v30, v29, v18
	v_sub_f16_e32 v31, v23, v11
	ds_write2_b32 v8, v9, v6 offset0:56 offset1:152
	ds_write2_b32 v2, v1, v0 offset0:120 offset1:216
	v_pack_b32_f16 v0, v4, v17
	v_pack_b32_f16 v1, v3, v19
	v_add_u32_e32 v2, 0x600, v8
	ds_write2_b32 v2, v0, v1 offset0:56 offset1:152
	v_pack_b32_f16 v0, v31, v30
	ds_write_b32 v8, v0 offset:2528
.LBB0_9:
	s_or_b64 exec, exec, s[2:3]
	s_waitcnt lgkmcnt(0)
	; wave barrier
	s_waitcnt lgkmcnt(0)
	ds_read2_b32 v[4:5], v8 offset1:56
	v_mov_b32_e32 v0, s0
	v_mov_b32_e32 v1, s1
	v_mad_u64_u32 v[6:7], s[0:1], s6, v12, 0
	s_waitcnt lgkmcnt(0)
	v_lshrrev_b32_e32 v9, 16, v4
	v_mul_f16_sdwa v3, v51, v9 dst_sel:DWORD dst_unused:UNUSED_PAD src0_sel:WORD_1 src1_sel:DWORD
	v_fma_f16 v3, v51, v4, v3
	v_cvt_f32_f16_e32 v11, v3
	v_mov_b32_e32 v2, v7
	v_mad_u64_u32 v[2:3], s[0:1], s7, v12, v[2:3]
	s_mov_b32 s2, 0x18618618
	v_mov_b32_e32 v7, v2
	v_cvt_f64_f32_e32 v[2:3], v11
	s_mov_b32 s3, 0x3f586186
	v_mul_f64 v[2:3], v[2:3], s[2:3]
	s_movk_i32 s6, 0x1ff
	v_and_or_b32 v2, v3, s6, v2
	v_cmp_ne_u32_e32 vcc, 0, v2
	v_lshrrev_b32_e32 v11, 8, v3
	s_movk_i32 s7, 0xffe
	v_cndmask_b32_e64 v2, 0, 1, vcc
	v_bfe_u32 v12, v3, 20, 11
	v_and_or_b32 v11, v11, s7, v2
	v_sub_u32_e32 v14, 0x3f1, v12
	v_or_b32_e32 v2, 0x1000, v11
	v_med3_i32 v14, v14, 0, 13
	v_lshrrev_b32_e32 v15, v14, v2
	v_lshlrev_b32_e32 v14, v14, v15
	v_cmp_ne_u32_e32 vcc, v14, v2
	v_add_u32_e32 v12, 0xfffffc10, v12
	v_lshl_or_b32 v14, v12, 12, v11
	v_cndmask_b32_e64 v2, 0, 1, vcc
	v_or_b32_e32 v2, v15, v2
	v_cmp_gt_i32_e32 vcc, 1, v12
	v_mul_f16_sdwa v4, v51, v4 dst_sel:DWORD dst_unused:UNUSED_PAD src0_sel:WORD_1 src1_sel:DWORD
	v_fma_f16 v4, v51, v9, -v4
	v_cndmask_b32_e32 v2, v14, v2, vcc
	v_and_b32_e32 v14, 7, v2
	v_cmp_lt_i32_e32 vcc, 5, v14
	v_cmp_eq_u32_e64 s[0:1], 3, v14
	v_lshrrev_b32_e32 v2, 2, v2
	s_or_b64 vcc, s[0:1], vcc
	v_addc_co_u32_e32 v14, vcc, 0, v2, vcc
	v_mov_b32_e32 v2, 0x7c00
	v_cmp_gt_i32_e32 vcc, 31, v12
	v_cvt_f32_f16_e32 v4, v4
	s_movk_i32 s8, 0x40f
	v_cndmask_b32_e32 v14, v2, v14, vcc
	v_cmp_ne_u32_e32 vcc, 0, v11
	v_add_u32_e32 v18, 0x400, v8
	s_mov_b32 s9, 0x8000
	v_cndmask_b32_e64 v11, 0, 1, vcc
	v_lshl_or_b32 v11, v11, 9, v2
	v_cmp_eq_u32_e32 vcc, s8, v12
	v_and_b32_sdwa v3, v3, s9 dst_sel:DWORD dst_unused:UNUSED_PAD src0_sel:WORD_1 src1_sel:DWORD
	s_mov_b32 s10, 0xffff
	v_cndmask_b32_e32 v9, v14, v11, vcc
	v_cvt_f64_f32_e32 v[14:15], v4
	v_mul_f64 v[14:15], v[14:15], s[2:3]
	v_and_or_b32 v4, v15, s6, v14
	v_cmp_ne_u32_e32 vcc, 0, v4
	v_lshrrev_b32_e32 v11, 8, v15
	v_bfe_u32 v12, v15, 20, 11
	v_cndmask_b32_e64 v4, 0, 1, vcc
	v_and_or_b32 v4, v11, s7, v4
	v_sub_u32_e32 v14, 0x3f1, v12
	v_or_b32_e32 v11, 0x1000, v4
	v_med3_i32 v14, v14, 0, 13
	v_lshrrev_b32_e32 v16, v14, v11
	v_lshlrev_b32_e32 v14, v14, v16
	v_cmp_ne_u32_e32 vcc, v14, v11
	v_add_u32_e32 v12, 0xfffffc10, v12
	v_lshl_or_b32 v14, v12, 12, v4
	v_cndmask_b32_e64 v11, 0, 1, vcc
	v_or_b32_e32 v11, v16, v11
	v_cmp_gt_i32_e32 vcc, 1, v12
	ds_read2_b32 v[16:17], v18 offset0:80 offset1:136
	v_bitop3_b32 v3, v3, s10, v9 bitop3:0xc8
	v_cndmask_b32_e32 v11, v14, v11, vcc
	v_and_b32_e32 v14, 7, v11
	v_cmp_lt_i32_e32 vcc, 5, v14
	v_cmp_eq_u32_e64 s[0:1], 3, v14
	v_lshrrev_b32_e32 v11, 2, v11
	s_or_b64 vcc, s[0:1], vcc
	v_addc_co_u32_e32 v11, vcc, 0, v11, vcc
	v_cmp_gt_i32_e32 vcc, 31, v12
	v_lshl_add_u64 v[0:1], v[6:7], 2, v[0:1]
	s_mul_i32 s11, s5, 0x540
	v_cndmask_b32_e32 v11, v2, v11, vcc
	v_cmp_ne_u32_e32 vcc, 0, v4
	s_nop 1
	v_cndmask_b32_e64 v4, 0, 1, vcc
	v_lshl_or_b32 v4, v4, 9, v2
	v_cmp_eq_u32_e32 vcc, s8, v12
	s_nop 1
	v_cndmask_b32_e32 v4, v11, v4, vcc
	v_lshrrev_b32_e32 v11, 16, v15
	v_mad_u64_u32 v[14:15], s[0:1], s4, v10, 0
	v_and_or_b32 v12, v11, s9, v4
	v_mov_b32_e32 v4, v15
	v_mad_u64_u32 v[10:11], s[0:1], s5, v10, v[4:5]
	s_waitcnt lgkmcnt(0)
	v_lshrrev_b32_e32 v4, 16, v16
	v_mul_f16_sdwa v9, v50, v4 dst_sel:DWORD dst_unused:UNUSED_PAD src0_sel:WORD_1 src1_sel:DWORD
	v_fma_f16 v9, v50, v16, v9
	v_cvt_f32_f16_e32 v9, v9
	v_mov_b32_e32 v15, v10
	v_lshl_or_b32 v3, v12, 16, v3
	v_lshl_add_u64 v[6:7], v[14:15], 2, v[0:1]
	v_cvt_f64_f32_e32 v[10:11], v9
	v_mul_f64 v[10:11], v[10:11], s[2:3]
	global_store_dword v[6:7], v3, off
	v_and_or_b32 v3, v11, s6, v10
	v_cmp_ne_u32_e32 vcc, 0, v3
	v_lshrrev_b32_e32 v9, 8, v11
	v_bfe_u32 v10, v11, 20, 11
	v_cndmask_b32_e64 v3, 0, 1, vcc
	v_and_or_b32 v3, v9, s7, v3
	v_sub_u32_e32 v12, 0x3f1, v10
	v_or_b32_e32 v9, 0x1000, v3
	v_med3_i32 v12, v12, 0, 13
	v_lshrrev_b32_e32 v14, v12, v9
	v_lshlrev_b32_e32 v12, v12, v14
	v_cmp_ne_u32_e32 vcc, v12, v9
	v_add_u32_e32 v10, 0xfffffc10, v10
	v_lshl_or_b32 v12, v10, 12, v3
	v_cndmask_b32_e64 v9, 0, 1, vcc
	v_or_b32_e32 v9, v14, v9
	v_cmp_gt_i32_e32 vcc, 1, v10
	s_nop 1
	v_cndmask_b32_e32 v9, v12, v9, vcc
	v_and_b32_e32 v12, 7, v9
	v_cmp_lt_i32_e32 vcc, 5, v12
	v_cmp_eq_u32_e64 s[0:1], 3, v12
	v_lshrrev_b32_e32 v9, 2, v9
	s_or_b64 vcc, s[0:1], vcc
	v_mul_f16_sdwa v12, v50, v16 dst_sel:DWORD dst_unused:UNUSED_PAD src0_sel:WORD_1 src1_sel:DWORD
	v_addc_co_u32_e32 v9, vcc, 0, v9, vcc
	v_fma_f16 v4, v50, v4, -v12
	v_cmp_gt_i32_e32 vcc, 31, v10
	v_cvt_f32_f16_e32 v4, v4
	s_nop 0
	v_cndmask_b32_e32 v9, v2, v9, vcc
	v_cmp_ne_u32_e32 vcc, 0, v3
	s_nop 1
	v_cndmask_b32_e64 v3, 0, 1, vcc
	v_lshl_or_b32 v3, v3, 9, v2
	v_cmp_eq_u32_e32 vcc, s8, v10
	s_nop 1
	v_cndmask_b32_e32 v3, v9, v3, vcc
	v_and_b32_sdwa v9, v11, s9 dst_sel:DWORD dst_unused:UNUSED_PAD src0_sel:WORD_1 src1_sel:DWORD
	v_cvt_f64_f32_e32 v[10:11], v4
	v_mul_f64 v[10:11], v[10:11], s[2:3]
	v_and_or_b32 v4, v11, s6, v10
	v_cmp_ne_u32_e32 vcc, 0, v4
	v_lshrrev_b32_e32 v10, 8, v11
	v_bfe_u32 v12, v11, 20, 11
	v_cndmask_b32_e64 v4, 0, 1, vcc
	v_and_or_b32 v4, v10, s7, v4
	v_sub_u32_e32 v14, 0x3f1, v12
	v_or_b32_e32 v10, 0x1000, v4
	v_med3_i32 v14, v14, 0, 13
	v_lshrrev_b32_e32 v15, v14, v10
	v_lshlrev_b32_e32 v14, v14, v15
	v_cmp_ne_u32_e32 vcc, v14, v10
	v_add_u32_e32 v12, 0xfffffc10, v12
	v_lshl_or_b32 v14, v12, 12, v4
	v_cndmask_b32_e64 v10, 0, 1, vcc
	v_or_b32_e32 v10, v15, v10
	v_cmp_gt_i32_e32 vcc, 1, v12
	v_bitop3_b32 v3, v9, s10, v3 bitop3:0xc8
	v_lshrrev_b32_e32 v9, 16, v5
	v_cndmask_b32_e32 v10, v14, v10, vcc
	v_and_b32_e32 v14, 7, v10
	v_cmp_lt_i32_e32 vcc, 5, v14
	v_cmp_eq_u32_e64 s[0:1], 3, v14
	v_lshrrev_b32_e32 v10, 2, v10
	s_or_b64 vcc, s[0:1], vcc
	v_addc_co_u32_e32 v10, vcc, 0, v10, vcc
	v_cmp_gt_i32_e32 vcc, 31, v12
	s_nop 1
	v_cndmask_b32_e32 v10, v2, v10, vcc
	v_cmp_ne_u32_e32 vcc, 0, v4
	s_nop 1
	v_cndmask_b32_e64 v4, 0, 1, vcc
	v_lshl_or_b32 v4, v4, 9, v2
	v_cmp_eq_u32_e32 vcc, s8, v12
	s_nop 1
	v_cndmask_b32_e32 v4, v10, v4, vcc
	v_lshrrev_b32_e32 v10, 16, v11
	v_and_or_b32 v4, v10, s9, v4
	v_mul_f16_sdwa v10, v49, v9 dst_sel:DWORD dst_unused:UNUSED_PAD src0_sel:WORD_1 src1_sel:DWORD
	v_fma_f16 v10, v49, v5, v10
	v_cvt_f32_f16_e32 v10, v10
	v_lshl_or_b32 v4, v4, 16, v3
	v_mov_b32_e32 v3, 0x540
	v_mad_u64_u32 v[6:7], s[0:1], s4, v3, v[6:7]
	v_cvt_f64_f32_e32 v[10:11], v10
	v_add_u32_e32 v7, s11, v7
	v_mul_f64 v[10:11], v[10:11], s[2:3]
	global_store_dword v[6:7], v4, off
	v_and_or_b32 v4, v11, s6, v10
	v_cmp_ne_u32_e32 vcc, 0, v4
	v_lshrrev_b32_e32 v10, 8, v11
	v_bfe_u32 v12, v11, 20, 11
	v_cndmask_b32_e64 v4, 0, 1, vcc
	v_and_or_b32 v4, v10, s7, v4
	v_sub_u32_e32 v14, 0x3f1, v12
	v_or_b32_e32 v10, 0x1000, v4
	v_med3_i32 v14, v14, 0, 13
	v_lshrrev_b32_e32 v15, v14, v10
	v_lshlrev_b32_e32 v14, v14, v15
	v_cmp_ne_u32_e32 vcc, v14, v10
	v_add_u32_e32 v12, 0xfffffc10, v12
	v_lshl_or_b32 v14, v12, 12, v4
	v_cndmask_b32_e64 v10, 0, 1, vcc
	v_or_b32_e32 v10, v15, v10
	v_cmp_gt_i32_e32 vcc, 1, v12
	v_mul_f16_sdwa v5, v49, v5 dst_sel:DWORD dst_unused:UNUSED_PAD src0_sel:WORD_1 src1_sel:DWORD
	v_fma_f16 v5, v49, v9, -v5
	v_cndmask_b32_e32 v10, v14, v10, vcc
	v_and_b32_e32 v14, 7, v10
	v_cmp_lt_i32_e32 vcc, 5, v14
	v_cmp_eq_u32_e64 s[0:1], 3, v14
	v_lshrrev_b32_e32 v10, 2, v10
	s_or_b64 vcc, s[0:1], vcc
	v_addc_co_u32_e32 v10, vcc, 0, v10, vcc
	v_cmp_gt_i32_e32 vcc, 31, v12
	v_cvt_f32_f16_e32 v5, v5
	s_nop 0
	v_cndmask_b32_e32 v10, v2, v10, vcc
	v_cmp_ne_u32_e32 vcc, 0, v4
	s_nop 1
	v_cndmask_b32_e64 v4, 0, 1, vcc
	v_lshl_or_b32 v4, v4, 9, v2
	v_cmp_eq_u32_e32 vcc, s8, v12
	s_nop 1
	v_cndmask_b32_e32 v9, v10, v4, vcc
	v_cvt_f64_f32_e32 v[4:5], v5
	v_mul_f64 v[4:5], v[4:5], s[2:3]
	v_and_or_b32 v4, v5, s6, v4
	v_cmp_ne_u32_e32 vcc, 0, v4
	v_and_b32_sdwa v10, v11, s9 dst_sel:DWORD dst_unused:UNUSED_PAD src0_sel:WORD_1 src1_sel:DWORD
	v_lshrrev_b32_e32 v11, 8, v5
	v_cndmask_b32_e64 v4, 0, 1, vcc
	v_bfe_u32 v12, v5, 20, 11
	v_and_or_b32 v4, v11, s7, v4
	v_sub_u32_e32 v14, 0x3f1, v12
	v_or_b32_e32 v11, 0x1000, v4
	v_med3_i32 v14, v14, 0, 13
	v_lshrrev_b32_e32 v15, v14, v11
	v_lshlrev_b32_e32 v14, v14, v15
	v_cmp_ne_u32_e32 vcc, v14, v11
	v_add_u32_e32 v12, 0xfffffc10, v12
	v_lshl_or_b32 v14, v12, 12, v4
	v_cndmask_b32_e64 v11, 0, 1, vcc
	v_or_b32_e32 v11, v15, v11
	v_cmp_gt_i32_e32 vcc, 1, v12
	v_lshrrev_b32_e32 v5, 16, v5
	s_nop 0
	v_cndmask_b32_e32 v11, v14, v11, vcc
	v_and_b32_e32 v14, 7, v11
	v_cmp_lt_i32_e32 vcc, 5, v14
	v_cmp_eq_u32_e64 s[0:1], 3, v14
	v_lshrrev_b32_e32 v11, 2, v11
	s_or_b64 vcc, s[0:1], vcc
	v_addc_co_u32_e32 v11, vcc, 0, v11, vcc
	v_cmp_gt_i32_e32 vcc, 31, v12
	s_nop 1
	v_cndmask_b32_e32 v11, v2, v11, vcc
	v_cmp_ne_u32_e32 vcc, 0, v4
	s_nop 1
	v_cndmask_b32_e64 v4, 0, 1, vcc
	v_lshl_or_b32 v4, v4, 9, v2
	v_cmp_eq_u32_e32 vcc, s8, v12
	s_nop 1
	v_cndmask_b32_e32 v4, v11, v4, vcc
	v_and_or_b32 v4, v5, s9, v4
	v_bitop3_b32 v5, v10, s10, v9 bitop3:0xc8
	v_lshrrev_b32_e32 v9, 16, v17
	v_mul_f16_sdwa v10, v48, v9 dst_sel:DWORD dst_unused:UNUSED_PAD src0_sel:WORD_1 src1_sel:DWORD
	v_fma_f16 v10, v48, v17, v10
	v_cvt_f32_f16_e32 v10, v10
	v_lshl_or_b32 v5, v4, 16, v5
	v_mov_b32_e32 v4, 0xfffffba0
	v_mad_u64_u32 v[6:7], s[0:1], s4, v4, v[6:7]
	s_mul_i32 s0, s5, 0xfffffba0
	s_sub_i32 s12, s0, s4
	v_cvt_f64_f32_e32 v[10:11], v10
	v_add_u32_e32 v7, s12, v7
	v_mul_f64 v[10:11], v[10:11], s[2:3]
	global_store_dword v[6:7], v5, off
	v_and_or_b32 v5, v11, s6, v10
	v_cmp_ne_u32_e32 vcc, 0, v5
	v_lshrrev_b32_e32 v10, 8, v11
	v_bfe_u32 v12, v11, 20, 11
	v_cndmask_b32_e64 v5, 0, 1, vcc
	v_and_or_b32 v5, v10, s7, v5
	v_sub_u32_e32 v14, 0x3f1, v12
	v_or_b32_e32 v10, 0x1000, v5
	v_med3_i32 v14, v14, 0, 13
	v_lshrrev_b32_e32 v15, v14, v10
	v_lshlrev_b32_e32 v14, v14, v15
	v_cmp_ne_u32_e32 vcc, v14, v10
	v_add_u32_e32 v12, 0xfffffc10, v12
	v_lshl_or_b32 v14, v12, 12, v5
	v_cndmask_b32_e64 v10, 0, 1, vcc
	v_or_b32_e32 v10, v15, v10
	v_cmp_gt_i32_e32 vcc, 1, v12
	s_nop 1
	v_cndmask_b32_e32 v10, v14, v10, vcc
	v_and_b32_e32 v14, 7, v10
	v_cmp_lt_i32_e32 vcc, 5, v14
	v_cmp_eq_u32_e64 s[0:1], 3, v14
	v_lshrrev_b32_e32 v10, 2, v10
	s_or_b64 vcc, s[0:1], vcc
	v_mul_f16_sdwa v14, v48, v17 dst_sel:DWORD dst_unused:UNUSED_PAD src0_sel:WORD_1 src1_sel:DWORD
	v_addc_co_u32_e32 v10, vcc, 0, v10, vcc
	v_fma_f16 v9, v48, v9, -v14
	v_cmp_gt_i32_e32 vcc, 31, v12
	v_cvt_f32_f16_e32 v9, v9
	s_nop 0
	v_cndmask_b32_e32 v10, v2, v10, vcc
	v_cmp_ne_u32_e32 vcc, 0, v5
	s_nop 1
	v_cndmask_b32_e64 v5, 0, 1, vcc
	v_lshl_or_b32 v5, v5, 9, v2
	v_cmp_eq_u32_e32 vcc, s8, v12
	v_and_b32_sdwa v12, v11, s9 dst_sel:DWORD dst_unused:UNUSED_PAD src0_sel:WORD_1 src1_sel:DWORD
	s_nop 0
	v_cndmask_b32_e32 v5, v10, v5, vcc
	v_cvt_f64_f32_e32 v[10:11], v9
	v_mul_f64 v[10:11], v[10:11], s[2:3]
	v_and_or_b32 v9, v11, s6, v10
	v_cmp_ne_u32_e32 vcc, 0, v9
	v_lshrrev_b32_e32 v10, 8, v11
	v_bfe_u32 v14, v11, 20, 11
	v_cndmask_b32_e64 v9, 0, 1, vcc
	v_and_or_b32 v9, v10, s7, v9
	v_sub_u32_e32 v15, 0x3f1, v14
	v_or_b32_e32 v10, 0x1000, v9
	v_med3_i32 v15, v15, 0, 13
	v_lshrrev_b32_e32 v16, v15, v10
	v_lshlrev_b32_e32 v15, v15, v16
	v_cmp_ne_u32_e32 vcc, v15, v10
	v_add_u32_e32 v14, 0xfffffc10, v14
	v_lshl_or_b32 v15, v14, 12, v9
	v_cndmask_b32_e64 v10, 0, 1, vcc
	v_or_b32_e32 v10, v16, v10
	v_cmp_gt_i32_e32 vcc, 1, v14
	v_bitop3_b32 v5, v12, s10, v5 bitop3:0xc8
	s_nop 0
	v_cndmask_b32_e32 v10, v15, v10, vcc
	v_and_b32_e32 v15, 7, v10
	v_cmp_lt_i32_e32 vcc, 5, v15
	v_cmp_eq_u32_e64 s[0:1], 3, v15
	v_lshrrev_b32_e32 v10, 2, v10
	s_or_b64 vcc, s[0:1], vcc
	v_addc_co_u32_e32 v10, vcc, 0, v10, vcc
	v_cmp_gt_i32_e32 vcc, 31, v14
	v_mad_u64_u32 v[6:7], s[0:1], s4, v3, v[6:7]
	s_nop 0
	v_cndmask_b32_e32 v10, v2, v10, vcc
	v_cmp_ne_u32_e32 vcc, 0, v9
	v_add_u32_e32 v7, s11, v7
	s_nop 0
	v_cndmask_b32_e64 v9, 0, 1, vcc
	v_cmp_eq_u32_e32 vcc, s8, v14
	ds_read2_b32 v[14:15], v8 offset0:112 offset1:168
	v_lshl_or_b32 v9, v9, 9, v2
	v_cndmask_b32_e32 v9, v10, v9, vcc
	v_lshrrev_b32_e32 v10, 16, v11
	v_and_or_b32 v9, v10, s9, v9
	v_lshl_or_b32 v5, v9, 16, v5
	s_waitcnt lgkmcnt(0)
	v_lshrrev_b32_e32 v9, 16, v14
	v_mul_f16_sdwa v10, v47, v9 dst_sel:DWORD dst_unused:UNUSED_PAD src0_sel:WORD_1 src1_sel:DWORD
	v_fma_f16 v10, v47, v14, v10
	v_cvt_f32_f16_e32 v10, v10
	global_store_dword v[6:7], v5, off
	v_mul_f16_sdwa v14, v47, v14 dst_sel:DWORD dst_unused:UNUSED_PAD src0_sel:WORD_1 src1_sel:DWORD
	v_fma_f16 v9, v47, v9, -v14
	v_cvt_f64_f32_e32 v[10:11], v10
	v_mul_f64 v[10:11], v[10:11], s[2:3]
	v_and_or_b32 v5, v11, s6, v10
	v_cmp_ne_u32_e32 vcc, 0, v5
	v_lshrrev_b32_e32 v10, 8, v11
	v_bfe_u32 v12, v11, 20, 11
	v_cndmask_b32_e64 v5, 0, 1, vcc
	v_and_or_b32 v5, v10, s7, v5
	v_sub_u32_e32 v16, 0x3f1, v12
	v_or_b32_e32 v10, 0x1000, v5
	v_med3_i32 v16, v16, 0, 13
	v_lshrrev_b32_e32 v17, v16, v10
	v_lshlrev_b32_e32 v16, v16, v17
	v_cmp_ne_u32_e32 vcc, v16, v10
	v_add_u32_e32 v12, 0xfffffc10, v12
	v_lshl_or_b32 v16, v12, 12, v5
	v_cndmask_b32_e64 v10, 0, 1, vcc
	v_or_b32_e32 v10, v17, v10
	v_cmp_gt_i32_e32 vcc, 1, v12
	v_cvt_f32_f16_e32 v9, v9
	s_nop 0
	v_cndmask_b32_e32 v10, v16, v10, vcc
	v_and_b32_e32 v16, 7, v10
	v_cmp_lt_i32_e32 vcc, 5, v16
	v_cmp_eq_u32_e64 s[0:1], 3, v16
	v_lshrrev_b32_e32 v10, 2, v10
	s_or_b64 vcc, s[0:1], vcc
	v_addc_co_u32_e32 v10, vcc, 0, v10, vcc
	v_cmp_gt_i32_e32 vcc, 31, v12
	s_nop 1
	v_cndmask_b32_e32 v10, v2, v10, vcc
	v_cmp_ne_u32_e32 vcc, 0, v5
	s_nop 1
	v_cndmask_b32_e64 v5, 0, 1, vcc
	v_lshl_or_b32 v5, v5, 9, v2
	v_cmp_eq_u32_e32 vcc, s8, v12
	v_and_b32_sdwa v12, v11, s9 dst_sel:DWORD dst_unused:UNUSED_PAD src0_sel:WORD_1 src1_sel:DWORD
	s_nop 0
	v_cndmask_b32_e32 v5, v10, v5, vcc
	v_cvt_f64_f32_e32 v[10:11], v9
	v_mul_f64 v[10:11], v[10:11], s[2:3]
	v_and_or_b32 v9, v11, s6, v10
	v_cmp_ne_u32_e32 vcc, 0, v9
	v_lshrrev_b32_e32 v10, 8, v11
	v_bfe_u32 v14, v11, 20, 11
	v_cndmask_b32_e64 v9, 0, 1, vcc
	v_and_or_b32 v9, v10, s7, v9
	v_sub_u32_e32 v16, 0x3f1, v14
	v_or_b32_e32 v10, 0x1000, v9
	v_med3_i32 v16, v16, 0, 13
	v_lshrrev_b32_e32 v17, v16, v10
	v_lshlrev_b32_e32 v16, v16, v17
	v_cmp_ne_u32_e32 vcc, v16, v10
	v_add_u32_e32 v14, 0xfffffc10, v14
	v_lshl_or_b32 v16, v14, 12, v9
	v_cndmask_b32_e64 v10, 0, 1, vcc
	v_or_b32_e32 v10, v17, v10
	v_cmp_gt_i32_e32 vcc, 1, v14
	v_bitop3_b32 v5, v12, s10, v5 bitop3:0xc8
	s_nop 0
	v_cndmask_b32_e32 v10, v16, v10, vcc
	v_and_b32_e32 v16, 7, v10
	v_cmp_lt_i32_e32 vcc, 5, v16
	v_cmp_eq_u32_e64 s[0:1], 3, v16
	v_lshrrev_b32_e32 v10, 2, v10
	s_or_b64 vcc, s[0:1], vcc
	v_addc_co_u32_e32 v10, vcc, 0, v10, vcc
	v_cmp_gt_i32_e32 vcc, 31, v14
	ds_read2_b32 v[16:17], v18 offset0:192 offset1:248
	v_mad_u64_u32 v[6:7], s[0:1], s4, v4, v[6:7]
	v_cndmask_b32_e32 v10, v2, v10, vcc
	v_cmp_ne_u32_e32 vcc, 0, v9
	v_add_u32_e32 v7, s12, v7
	s_nop 0
	v_cndmask_b32_e64 v9, 0, 1, vcc
	v_lshl_or_b32 v9, v9, 9, v2
	v_cmp_eq_u32_e32 vcc, s8, v14
	s_nop 1
	v_cndmask_b32_e32 v9, v10, v9, vcc
	v_lshrrev_b32_e32 v10, 16, v11
	v_and_or_b32 v9, v10, s9, v9
	v_lshl_or_b32 v5, v9, 16, v5
	s_waitcnt lgkmcnt(0)
	v_lshrrev_b32_e32 v9, 16, v16
	v_mul_f16_sdwa v10, v46, v9 dst_sel:DWORD dst_unused:UNUSED_PAD src0_sel:WORD_1 src1_sel:DWORD
	v_fma_f16 v10, v46, v16, v10
	v_cvt_f32_f16_e32 v10, v10
	global_store_dword v[6:7], v5, off
	v_cvt_f64_f32_e32 v[10:11], v10
	v_mul_f64 v[10:11], v[10:11], s[2:3]
	v_and_or_b32 v5, v11, s6, v10
	v_cmp_ne_u32_e32 vcc, 0, v5
	v_lshrrev_b32_e32 v10, 8, v11
	v_bfe_u32 v12, v11, 20, 11
	v_cndmask_b32_e64 v5, 0, 1, vcc
	v_and_or_b32 v5, v10, s7, v5
	v_sub_u32_e32 v14, 0x3f1, v12
	v_or_b32_e32 v10, 0x1000, v5
	v_med3_i32 v14, v14, 0, 13
	v_lshrrev_b32_e32 v18, v14, v10
	v_lshlrev_b32_e32 v14, v14, v18
	v_cmp_ne_u32_e32 vcc, v14, v10
	v_add_u32_e32 v12, 0xfffffc10, v12
	v_lshl_or_b32 v14, v12, 12, v5
	v_cndmask_b32_e64 v10, 0, 1, vcc
	v_or_b32_e32 v10, v18, v10
	v_cmp_gt_i32_e32 vcc, 1, v12
	s_nop 1
	v_cndmask_b32_e32 v10, v14, v10, vcc
	v_and_b32_e32 v14, 7, v10
	v_cmp_lt_i32_e32 vcc, 5, v14
	v_cmp_eq_u32_e64 s[0:1], 3, v14
	v_lshrrev_b32_e32 v10, 2, v10
	s_or_b64 vcc, s[0:1], vcc
	v_mul_f16_sdwa v14, v46, v16 dst_sel:DWORD dst_unused:UNUSED_PAD src0_sel:WORD_1 src1_sel:DWORD
	v_addc_co_u32_e32 v10, vcc, 0, v10, vcc
	v_fma_f16 v9, v46, v9, -v14
	v_cmp_gt_i32_e32 vcc, 31, v12
	v_cvt_f32_f16_e32 v9, v9
	v_and_b32_sdwa v14, v11, s9 dst_sel:DWORD dst_unused:UNUSED_PAD src0_sel:WORD_1 src1_sel:DWORD
	v_cndmask_b32_e32 v10, v2, v10, vcc
	v_cmp_ne_u32_e32 vcc, 0, v5
	s_nop 1
	v_cndmask_b32_e64 v5, 0, 1, vcc
	v_lshl_or_b32 v5, v5, 9, v2
	v_cmp_eq_u32_e32 vcc, s8, v12
	s_nop 1
	v_cndmask_b32_e32 v5, v10, v5, vcc
	v_cvt_f64_f32_e32 v[10:11], v9
	v_mul_f64 v[10:11], v[10:11], s[2:3]
	v_and_or_b32 v9, v11, s6, v10
	v_cmp_ne_u32_e32 vcc, 0, v9
	v_lshrrev_b32_e32 v10, 8, v11
	v_bfe_u32 v12, v11, 20, 11
	v_cndmask_b32_e64 v9, 0, 1, vcc
	v_and_or_b32 v9, v10, s7, v9
	v_sub_u32_e32 v16, 0x3f1, v12
	v_or_b32_e32 v10, 0x1000, v9
	v_med3_i32 v16, v16, 0, 13
	v_lshrrev_b32_e32 v18, v16, v10
	v_lshlrev_b32_e32 v16, v16, v18
	v_cmp_ne_u32_e32 vcc, v16, v10
	v_add_u32_e32 v12, 0xfffffc10, v12
	v_lshl_or_b32 v16, v12, 12, v9
	v_cndmask_b32_e64 v10, 0, 1, vcc
	v_or_b32_e32 v10, v18, v10
	v_cmp_gt_i32_e32 vcc, 1, v12
	v_bitop3_b32 v5, v14, s10, v5 bitop3:0xc8
	s_nop 0
	v_cndmask_b32_e32 v10, v16, v10, vcc
	v_and_b32_e32 v16, 7, v10
	v_cmp_lt_i32_e32 vcc, 5, v16
	v_cmp_eq_u32_e64 s[0:1], 3, v16
	v_lshrrev_b32_e32 v10, 2, v10
	s_or_b64 vcc, s[0:1], vcc
	v_addc_co_u32_e32 v10, vcc, 0, v10, vcc
	v_cmp_gt_i32_e32 vcc, 31, v12
	s_nop 1
	v_cndmask_b32_e32 v10, v2, v10, vcc
	v_cmp_ne_u32_e32 vcc, 0, v9
	s_nop 1
	v_cndmask_b32_e64 v9, 0, 1, vcc
	v_lshl_or_b32 v9, v9, 9, v2
	v_cmp_eq_u32_e32 vcc, s8, v12
	s_nop 1
	v_cndmask_b32_e32 v9, v10, v9, vcc
	v_lshrrev_b32_e32 v10, 16, v11
	v_and_or_b32 v9, v10, s9, v9
	v_mad_u64_u32 v[10:11], s[0:1], s4, v45, 0
	v_mov_b32_e32 v12, v11
	v_mad_u64_u32 v[18:19], s[0:1], s5, v45, v[12:13]
	v_lshrrev_b32_e32 v12, 16, v15
	v_mul_f16_sdwa v14, v44, v12 dst_sel:DWORD dst_unused:UNUSED_PAD src0_sel:WORD_1 src1_sel:DWORD
	v_fma_f16 v14, v44, v15, v14
	v_cvt_f32_f16_e32 v14, v14
	v_mov_b32_e32 v11, v18
	v_lshl_or_b32 v5, v9, 16, v5
	v_lshl_add_u64 v[0:1], v[10:11], 2, v[0:1]
	global_store_dword v[0:1], v5, off
	v_cvt_f64_f32_e32 v[0:1], v14
	v_mul_f64 v[0:1], v[0:1], s[2:3]
	v_and_or_b32 v0, v1, s6, v0
	v_cmp_ne_u32_e32 vcc, 0, v0
	v_lshrrev_b32_e32 v5, 8, v1
	v_bfe_u32 v9, v1, 20, 11
	v_cndmask_b32_e64 v0, 0, 1, vcc
	v_and_or_b32 v0, v5, s7, v0
	v_sub_u32_e32 v10, 0x3f1, v9
	v_or_b32_e32 v5, 0x1000, v0
	v_med3_i32 v10, v10, 0, 13
	v_lshrrev_b32_e32 v11, v10, v5
	v_lshlrev_b32_e32 v10, v10, v11
	v_cmp_ne_u32_e32 vcc, v10, v5
	v_add_u32_e32 v9, 0xfffffc10, v9
	v_lshl_or_b32 v10, v9, 12, v0
	v_cndmask_b32_e64 v5, 0, 1, vcc
	v_or_b32_e32 v5, v11, v5
	v_cmp_gt_i32_e32 vcc, 1, v9
	s_nop 1
	v_cndmask_b32_e32 v5, v10, v5, vcc
	v_and_b32_e32 v10, 7, v5
	v_cmp_lt_i32_e32 vcc, 5, v10
	v_cmp_eq_u32_e64 s[0:1], 3, v10
	v_lshrrev_b32_e32 v5, 2, v5
	s_or_b64 vcc, s[0:1], vcc
	v_mul_f16_sdwa v10, v44, v15 dst_sel:DWORD dst_unused:UNUSED_PAD src0_sel:WORD_1 src1_sel:DWORD
	v_addc_co_u32_e32 v5, vcc, 0, v5, vcc
	v_fma_f16 v10, v44, v12, -v10
	v_cmp_gt_i32_e32 vcc, 31, v9
	v_cvt_f32_f16_e32 v10, v10
	s_nop 0
	v_cndmask_b32_e32 v5, v2, v5, vcc
	v_cmp_ne_u32_e32 vcc, 0, v0
	s_nop 1
	v_cndmask_b32_e64 v0, 0, 1, vcc
	v_lshl_or_b32 v0, v0, 9, v2
	v_cmp_eq_u32_e32 vcc, s8, v9
	v_and_b32_sdwa v9, v1, s9 dst_sel:DWORD dst_unused:UNUSED_PAD src0_sel:WORD_1 src1_sel:DWORD
	s_nop 0
	v_cndmask_b32_e32 v5, v5, v0, vcc
	v_cvt_f64_f32_e32 v[0:1], v10
	v_mul_f64 v[0:1], v[0:1], s[2:3]
	v_and_or_b32 v0, v1, s6, v0
	v_cmp_ne_u32_e32 vcc, 0, v0
	v_lshrrev_b32_e32 v10, 8, v1
	v_bfe_u32 v11, v1, 20, 11
	v_cndmask_b32_e64 v0, 0, 1, vcc
	v_and_or_b32 v0, v10, s7, v0
	v_sub_u32_e32 v12, 0x3f1, v11
	v_or_b32_e32 v10, 0x1000, v0
	v_med3_i32 v12, v12, 0, 13
	v_lshrrev_b32_e32 v14, v12, v10
	v_lshlrev_b32_e32 v12, v12, v14
	v_cmp_ne_u32_e32 vcc, v12, v10
	v_add_u32_e32 v11, 0xfffffc10, v11
	v_lshl_or_b32 v12, v11, 12, v0
	v_cndmask_b32_e64 v10, 0, 1, vcc
	v_or_b32_e32 v10, v14, v10
	v_cmp_gt_i32_e32 vcc, 1, v11
	v_lshrrev_b32_e32 v1, 16, v1
	s_nop 0
	v_cndmask_b32_e32 v10, v12, v10, vcc
	v_and_b32_e32 v12, 7, v10
	v_cmp_lt_i32_e32 vcc, 5, v12
	v_cmp_eq_u32_e64 s[0:1], 3, v12
	v_lshrrev_b32_e32 v10, 2, v10
	s_or_b64 vcc, s[0:1], vcc
	v_addc_co_u32_e32 v10, vcc, 0, v10, vcc
	v_cmp_gt_i32_e32 vcc, 31, v11
	s_nop 1
	v_cndmask_b32_e32 v10, v2, v10, vcc
	v_cmp_ne_u32_e32 vcc, 0, v0
	s_nop 1
	v_cndmask_b32_e64 v0, 0, 1, vcc
	v_lshl_or_b32 v0, v0, 9, v2
	v_cmp_eq_u32_e32 vcc, s8, v11
	s_nop 1
	v_cndmask_b32_e32 v0, v10, v0, vcc
	v_and_or_b32 v0, v1, s9, v0
	v_bitop3_b32 v1, v9, s10, v5 bitop3:0xc8
	v_lshl_or_b32 v5, v0, 16, v1
	v_mov_b32_e32 v0, 0xe0
	v_lshrrev_b32_e32 v9, 16, v17
	v_mad_u64_u32 v[0:1], s[0:1], s4, v0, v[6:7]
	v_mul_f16_sdwa v6, v43, v9 dst_sel:DWORD dst_unused:UNUSED_PAD src0_sel:WORD_1 src1_sel:DWORD
	v_fma_f16 v6, v43, v17, v6
	v_cvt_f32_f16_e32 v6, v6
	s_mul_i32 s0, s5, 0xe0
	v_add_u32_e32 v1, s0, v1
	global_store_dword v[0:1], v5, off
	v_cvt_f64_f32_e32 v[6:7], v6
	v_mul_f64 v[6:7], v[6:7], s[2:3]
	v_and_or_b32 v5, v7, s6, v6
	v_cmp_ne_u32_e32 vcc, 0, v5
	v_lshrrev_b32_e32 v6, 8, v7
	v_bfe_u32 v10, v7, 20, 11
	v_cndmask_b32_e64 v5, 0, 1, vcc
	v_and_or_b32 v5, v6, s7, v5
	v_sub_u32_e32 v11, 0x3f1, v10
	v_or_b32_e32 v6, 0x1000, v5
	v_med3_i32 v11, v11, 0, 13
	v_lshrrev_b32_e32 v12, v11, v6
	v_lshlrev_b32_e32 v11, v11, v12
	v_cmp_ne_u32_e32 vcc, v11, v6
	v_add_u32_e32 v10, 0xfffffc10, v10
	v_lshl_or_b32 v11, v10, 12, v5
	v_cndmask_b32_e64 v6, 0, 1, vcc
	v_or_b32_e32 v6, v12, v6
	v_cmp_gt_i32_e32 vcc, 1, v10
	v_and_b32_sdwa v12, v7, s9 dst_sel:DWORD dst_unused:UNUSED_PAD src0_sel:WORD_1 src1_sel:DWORD
	s_nop 0
	v_cndmask_b32_e32 v6, v11, v6, vcc
	v_and_b32_e32 v11, 7, v6
	v_cmp_lt_i32_e32 vcc, 5, v11
	v_cmp_eq_u32_e64 s[0:1], 3, v11
	v_lshrrev_b32_e32 v6, 2, v6
	s_or_b64 vcc, s[0:1], vcc
	v_mul_f16_sdwa v11, v43, v17 dst_sel:DWORD dst_unused:UNUSED_PAD src0_sel:WORD_1 src1_sel:DWORD
	v_addc_co_u32_e32 v6, vcc, 0, v6, vcc
	v_fma_f16 v9, v43, v9, -v11
	v_cmp_gt_i32_e32 vcc, 31, v10
	v_cvt_f32_f16_e32 v9, v9
	s_nop 0
	v_cndmask_b32_e32 v6, v2, v6, vcc
	v_cmp_ne_u32_e32 vcc, 0, v5
	s_nop 1
	v_cndmask_b32_e64 v5, 0, 1, vcc
	v_lshl_or_b32 v5, v5, 9, v2
	v_cmp_eq_u32_e32 vcc, s8, v10
	s_nop 1
	v_cndmask_b32_e32 v5, v6, v5, vcc
	v_cvt_f64_f32_e32 v[6:7], v9
	v_mul_f64 v[6:7], v[6:7], s[2:3]
	v_and_or_b32 v6, v7, s6, v6
	v_cmp_ne_u32_e32 vcc, 0, v6
	v_lshrrev_b32_e32 v9, 8, v7
	v_bfe_u32 v10, v7, 20, 11
	v_cndmask_b32_e64 v6, 0, 1, vcc
	v_and_or_b32 v6, v9, s7, v6
	v_sub_u32_e32 v11, 0x3f1, v10
	v_or_b32_e32 v9, 0x1000, v6
	v_med3_i32 v11, v11, 0, 13
	v_lshrrev_b32_e32 v14, v11, v9
	v_lshlrev_b32_e32 v11, v11, v14
	v_cmp_ne_u32_e32 vcc, v11, v9
	v_add_u32_e32 v10, 0xfffffc10, v10
	v_lshl_or_b32 v11, v10, 12, v6
	v_cndmask_b32_e64 v9, 0, 1, vcc
	v_or_b32_e32 v9, v14, v9
	v_cmp_gt_i32_e32 vcc, 1, v10
	v_lshrrev_b32_e32 v7, 16, v7
	v_bitop3_b32 v5, v12, s10, v5 bitop3:0xc8
	v_cndmask_b32_e32 v9, v11, v9, vcc
	v_and_b32_e32 v11, 7, v9
	v_cmp_lt_i32_e32 vcc, 5, v11
	v_cmp_eq_u32_e64 s[0:1], 3, v11
	v_lshrrev_b32_e32 v9, 2, v9
	s_or_b64 vcc, s[0:1], vcc
	v_addc_co_u32_e32 v9, vcc, 0, v9, vcc
	v_cmp_gt_i32_e32 vcc, 31, v10
	v_mad_u64_u32 v[0:1], s[0:1], s4, v3, v[0:1]
	s_nop 0
	v_cndmask_b32_e32 v9, v2, v9, vcc
	v_cmp_ne_u32_e32 vcc, 0, v6
	v_add_u32_e32 v1, s11, v1
	s_nop 0
	v_cndmask_b32_e64 v6, 0, 1, vcc
	v_lshl_or_b32 v6, v6, 9, v2
	v_cmp_eq_u32_e32 vcc, s8, v10
	s_nop 1
	v_cndmask_b32_e32 v6, v9, v6, vcc
	v_add_u32_e32 v9, 0x200, v8
	ds_read2_b32 v[10:11], v9 offset0:96 offset1:152
	v_and_or_b32 v6, v7, s9, v6
	v_lshl_or_b32 v5, v6, 16, v5
	global_store_dword v[0:1], v5, off
	v_add_u32_e32 v8, 0x800, v8
	s_waitcnt lgkmcnt(0)
	v_lshrrev_b32_e32 v9, 16, v10
	v_mul_f16_sdwa v6, v42, v9 dst_sel:DWORD dst_unused:UNUSED_PAD src0_sel:WORD_1 src1_sel:DWORD
	v_fma_f16 v6, v42, v10, v6
	v_cvt_f32_f16_e32 v6, v6
	v_mul_f16_sdwa v10, v42, v10 dst_sel:DWORD dst_unused:UNUSED_PAD src0_sel:WORD_1 src1_sel:DWORD
	v_fma_f16 v9, v42, v9, -v10
	v_cvt_f32_f16_e32 v9, v9
	v_cvt_f64_f32_e32 v[6:7], v6
	v_mul_f64 v[6:7], v[6:7], s[2:3]
	v_and_or_b32 v5, v7, s6, v6
	v_cmp_ne_u32_e32 vcc, 0, v5
	v_lshrrev_b32_e32 v6, 8, v7
	v_bfe_u32 v12, v7, 20, 11
	v_cndmask_b32_e64 v5, 0, 1, vcc
	v_and_or_b32 v5, v6, s7, v5
	v_sub_u32_e32 v14, 0x3f1, v12
	v_or_b32_e32 v6, 0x1000, v5
	v_med3_i32 v14, v14, 0, 13
	v_lshrrev_b32_e32 v15, v14, v6
	v_lshlrev_b32_e32 v14, v14, v15
	v_cmp_ne_u32_e32 vcc, v14, v6
	v_add_u32_e32 v12, 0xfffffc10, v12
	v_lshl_or_b32 v14, v12, 12, v5
	v_cndmask_b32_e64 v6, 0, 1, vcc
	v_or_b32_e32 v6, v15, v6
	v_cmp_gt_i32_e32 vcc, 1, v12
	v_and_b32_sdwa v10, v7, s9 dst_sel:DWORD dst_unused:UNUSED_PAD src0_sel:WORD_1 src1_sel:DWORD
	s_nop 0
	v_cndmask_b32_e32 v6, v14, v6, vcc
	v_and_b32_e32 v14, 7, v6
	v_cmp_lt_i32_e32 vcc, 5, v14
	v_cmp_eq_u32_e64 s[0:1], 3, v14
	v_lshrrev_b32_e32 v6, 2, v6
	s_or_b64 vcc, s[0:1], vcc
	v_addc_co_u32_e32 v6, vcc, 0, v6, vcc
	v_cmp_gt_i32_e32 vcc, 31, v12
	s_nop 1
	v_cndmask_b32_e32 v6, v2, v6, vcc
	v_cmp_ne_u32_e32 vcc, 0, v5
	s_nop 1
	v_cndmask_b32_e64 v5, 0, 1, vcc
	v_lshl_or_b32 v5, v5, 9, v2
	v_cmp_eq_u32_e32 vcc, s8, v12
	s_nop 1
	v_cndmask_b32_e32 v5, v6, v5, vcc
	v_cvt_f64_f32_e32 v[6:7], v9
	v_mul_f64 v[6:7], v[6:7], s[2:3]
	v_and_or_b32 v6, v7, s6, v6
	v_cmp_ne_u32_e32 vcc, 0, v6
	v_lshrrev_b32_e32 v9, 8, v7
	v_bfe_u32 v12, v7, 20, 11
	v_cndmask_b32_e64 v6, 0, 1, vcc
	v_and_or_b32 v6, v9, s7, v6
	v_sub_u32_e32 v14, 0x3f1, v12
	v_or_b32_e32 v9, 0x1000, v6
	v_med3_i32 v14, v14, 0, 13
	v_lshrrev_b32_e32 v15, v14, v9
	v_lshlrev_b32_e32 v14, v14, v15
	v_cmp_ne_u32_e32 vcc, v14, v9
	v_add_u32_e32 v12, 0xfffffc10, v12
	v_lshl_or_b32 v14, v12, 12, v6
	v_cndmask_b32_e64 v9, 0, 1, vcc
	v_or_b32_e32 v9, v15, v9
	v_cmp_gt_i32_e32 vcc, 1, v12
	v_lshrrev_b32_e32 v7, 16, v7
	v_bitop3_b32 v5, v10, s10, v5 bitop3:0xc8
	v_cndmask_b32_e32 v9, v14, v9, vcc
	v_and_b32_e32 v14, 7, v9
	v_cmp_lt_i32_e32 vcc, 5, v14
	v_cmp_eq_u32_e64 s[0:1], 3, v14
	v_lshrrev_b32_e32 v9, 2, v9
	s_or_b64 vcc, s[0:1], vcc
	v_addc_co_u32_e32 v9, vcc, 0, v9, vcc
	v_cmp_gt_i32_e32 vcc, 31, v12
	v_mad_u64_u32 v[0:1], s[0:1], s4, v4, v[0:1]
	s_nop 0
	v_cndmask_b32_e32 v9, v2, v9, vcc
	v_cmp_ne_u32_e32 vcc, 0, v6
	v_add_u32_e32 v1, s12, v1
	s_nop 0
	v_cndmask_b32_e64 v6, 0, 1, vcc
	v_lshl_or_b32 v6, v6, 9, v2
	v_cmp_eq_u32_e32 vcc, s8, v12
	s_nop 1
	v_cndmask_b32_e32 v6, v9, v6, vcc
	ds_read2_b32 v[8:9], v8 offset0:48 offset1:104
	v_and_or_b32 v6, v7, s9, v6
	v_lshl_or_b32 v5, v6, 16, v5
	global_store_dword v[0:1], v5, off
	s_waitcnt lgkmcnt(0)
	v_lshrrev_b32_e32 v10, 16, v8
	v_mul_f16_sdwa v6, v41, v10 dst_sel:DWORD dst_unused:UNUSED_PAD src0_sel:WORD_1 src1_sel:DWORD
	v_fma_f16 v6, v41, v8, v6
	v_cvt_f32_f16_e32 v6, v6
	v_mul_f16_sdwa v8, v41, v8 dst_sel:DWORD dst_unused:UNUSED_PAD src0_sel:WORD_1 src1_sel:DWORD
	v_fma_f16 v8, v41, v10, -v8
	v_cvt_f32_f16_e32 v8, v8
	v_cvt_f64_f32_e32 v[6:7], v6
	v_mul_f64 v[6:7], v[6:7], s[2:3]
	v_and_or_b32 v5, v7, s6, v6
	v_cmp_ne_u32_e32 vcc, 0, v5
	v_lshrrev_b32_e32 v6, 8, v7
	v_bfe_u32 v12, v7, 20, 11
	v_cndmask_b32_e64 v5, 0, 1, vcc
	v_and_or_b32 v5, v6, s7, v5
	v_sub_u32_e32 v14, 0x3f1, v12
	v_or_b32_e32 v6, 0x1000, v5
	v_med3_i32 v14, v14, 0, 13
	v_lshrrev_b32_e32 v15, v14, v6
	v_lshlrev_b32_e32 v14, v14, v15
	v_cmp_ne_u32_e32 vcc, v14, v6
	v_add_u32_e32 v12, 0xfffffc10, v12
	v_lshl_or_b32 v14, v12, 12, v5
	v_cndmask_b32_e64 v6, 0, 1, vcc
	v_or_b32_e32 v6, v15, v6
	v_cmp_gt_i32_e32 vcc, 1, v12
	v_and_b32_sdwa v10, v7, s9 dst_sel:DWORD dst_unused:UNUSED_PAD src0_sel:WORD_1 src1_sel:DWORD
	s_nop 0
	v_cndmask_b32_e32 v6, v14, v6, vcc
	v_and_b32_e32 v14, 7, v6
	v_cmp_lt_i32_e32 vcc, 5, v14
	v_cmp_eq_u32_e64 s[0:1], 3, v14
	v_lshrrev_b32_e32 v6, 2, v6
	s_or_b64 vcc, s[0:1], vcc
	v_addc_co_u32_e32 v6, vcc, 0, v6, vcc
	v_cmp_gt_i32_e32 vcc, 31, v12
	s_nop 1
	v_cndmask_b32_e32 v6, v2, v6, vcc
	v_cmp_ne_u32_e32 vcc, 0, v5
	s_nop 1
	v_cndmask_b32_e64 v5, 0, 1, vcc
	v_lshl_or_b32 v5, v5, 9, v2
	v_cmp_eq_u32_e32 vcc, s8, v12
	s_nop 1
	v_cndmask_b32_e32 v5, v6, v5, vcc
	v_cvt_f64_f32_e32 v[6:7], v8
	v_mul_f64 v[6:7], v[6:7], s[2:3]
	v_and_or_b32 v6, v7, s6, v6
	v_cmp_ne_u32_e32 vcc, 0, v6
	v_lshrrev_b32_e32 v8, 8, v7
	v_bfe_u32 v12, v7, 20, 11
	v_cndmask_b32_e64 v6, 0, 1, vcc
	v_and_or_b32 v6, v8, s7, v6
	v_sub_u32_e32 v14, 0x3f1, v12
	v_or_b32_e32 v8, 0x1000, v6
	v_med3_i32 v14, v14, 0, 13
	v_lshrrev_b32_e32 v15, v14, v8
	v_lshlrev_b32_e32 v14, v14, v15
	v_cmp_ne_u32_e32 vcc, v14, v8
	v_add_u32_e32 v12, 0xfffffc10, v12
	v_lshl_or_b32 v14, v12, 12, v6
	v_cndmask_b32_e64 v8, 0, 1, vcc
	v_or_b32_e32 v8, v15, v8
	v_cmp_gt_i32_e32 vcc, 1, v12
	v_lshrrev_b32_e32 v7, 16, v7
	v_bitop3_b32 v5, v10, s10, v5 bitop3:0xc8
	v_cndmask_b32_e32 v8, v14, v8, vcc
	v_and_b32_e32 v14, 7, v8
	v_cmp_lt_i32_e32 vcc, 5, v14
	v_cmp_eq_u32_e64 s[0:1], 3, v14
	v_lshrrev_b32_e32 v8, 2, v8
	s_or_b64 vcc, s[0:1], vcc
	v_addc_co_u32_e32 v8, vcc, 0, v8, vcc
	v_cmp_gt_i32_e32 vcc, 31, v12
	v_mad_u64_u32 v[0:1], s[0:1], s4, v3, v[0:1]
	s_nop 0
	v_cndmask_b32_e32 v8, v2, v8, vcc
	v_cmp_ne_u32_e32 vcc, 0, v6
	v_add_u32_e32 v1, s11, v1
	s_nop 0
	v_cndmask_b32_e64 v6, 0, 1, vcc
	v_lshl_or_b32 v6, v6, 9, v2
	v_cmp_eq_u32_e32 vcc, s8, v12
	s_nop 1
	v_cndmask_b32_e32 v6, v8, v6, vcc
	v_and_or_b32 v6, v7, s9, v6
	v_lshrrev_b32_e32 v8, 16, v11
	v_lshl_or_b32 v5, v6, 16, v5
	v_mul_f16_sdwa v6, v40, v8 dst_sel:DWORD dst_unused:UNUSED_PAD src0_sel:WORD_1 src1_sel:DWORD
	v_fma_f16 v6, v40, v11, v6
	v_cvt_f32_f16_e32 v6, v6
	global_store_dword v[0:1], v5, off
	v_mul_f16_sdwa v11, v40, v11 dst_sel:DWORD dst_unused:UNUSED_PAD src0_sel:WORD_1 src1_sel:DWORD
	v_fma_f16 v8, v40, v8, -v11
	v_cvt_f64_f32_e32 v[6:7], v6
	v_mul_f64 v[6:7], v[6:7], s[2:3]
	v_and_or_b32 v5, v7, s6, v6
	v_cmp_ne_u32_e32 vcc, 0, v5
	v_lshrrev_b32_e32 v6, 8, v7
	v_bfe_u32 v10, v7, 20, 11
	v_cndmask_b32_e64 v5, 0, 1, vcc
	v_and_or_b32 v5, v6, s7, v5
	v_sub_u32_e32 v12, 0x3f1, v10
	v_or_b32_e32 v6, 0x1000, v5
	v_med3_i32 v12, v12, 0, 13
	v_lshrrev_b32_e32 v14, v12, v6
	v_lshlrev_b32_e32 v12, v12, v14
	v_cmp_ne_u32_e32 vcc, v12, v6
	v_add_u32_e32 v10, 0xfffffc10, v10
	v_lshl_or_b32 v12, v10, 12, v5
	v_cndmask_b32_e64 v6, 0, 1, vcc
	v_or_b32_e32 v6, v14, v6
	v_cmp_gt_i32_e32 vcc, 1, v10
	v_cvt_f32_f16_e32 v8, v8
	s_nop 0
	v_cndmask_b32_e32 v6, v12, v6, vcc
	v_and_b32_e32 v12, 7, v6
	v_cmp_lt_i32_e32 vcc, 5, v12
	v_cmp_eq_u32_e64 s[0:1], 3, v12
	v_lshrrev_b32_e32 v6, 2, v6
	s_or_b64 vcc, s[0:1], vcc
	v_addc_co_u32_e32 v6, vcc, 0, v6, vcc
	v_cmp_gt_i32_e32 vcc, 31, v10
	s_nop 1
	v_cndmask_b32_e32 v6, v2, v6, vcc
	v_cmp_ne_u32_e32 vcc, 0, v5
	s_nop 1
	v_cndmask_b32_e64 v5, 0, 1, vcc
	v_lshl_or_b32 v5, v5, 9, v2
	v_cmp_eq_u32_e32 vcc, s8, v10
	v_and_b32_sdwa v10, v7, s9 dst_sel:DWORD dst_unused:UNUSED_PAD src0_sel:WORD_1 src1_sel:DWORD
	s_nop 0
	v_cndmask_b32_e32 v5, v6, v5, vcc
	v_cvt_f64_f32_e32 v[6:7], v8
	v_mul_f64 v[6:7], v[6:7], s[2:3]
	v_and_or_b32 v6, v7, s6, v6
	v_cmp_ne_u32_e32 vcc, 0, v6
	v_lshrrev_b32_e32 v8, 8, v7
	v_bfe_u32 v11, v7, 20, 11
	v_cndmask_b32_e64 v6, 0, 1, vcc
	v_and_or_b32 v6, v8, s7, v6
	v_sub_u32_e32 v12, 0x3f1, v11
	v_or_b32_e32 v8, 0x1000, v6
	v_med3_i32 v12, v12, 0, 13
	v_lshrrev_b32_e32 v14, v12, v8
	v_lshlrev_b32_e32 v12, v12, v14
	v_cmp_ne_u32_e32 vcc, v12, v8
	v_add_u32_e32 v11, 0xfffffc10, v11
	v_lshl_or_b32 v12, v11, 12, v6
	v_cndmask_b32_e64 v8, 0, 1, vcc
	v_or_b32_e32 v8, v14, v8
	v_cmp_gt_i32_e32 vcc, 1, v11
	v_lshrrev_b32_e32 v7, 16, v7
	v_bitop3_b32 v5, v10, s10, v5 bitop3:0xc8
	v_cndmask_b32_e32 v8, v12, v8, vcc
	v_and_b32_e32 v12, 7, v8
	v_cmp_lt_i32_e32 vcc, 5, v12
	v_cmp_eq_u32_e64 s[0:1], 3, v12
	v_lshrrev_b32_e32 v8, 2, v8
	s_or_b64 vcc, s[0:1], vcc
	v_addc_co_u32_e32 v8, vcc, 0, v8, vcc
	v_cmp_gt_i32_e32 vcc, 31, v11
	v_mad_u64_u32 v[0:1], s[0:1], s4, v4, v[0:1]
	s_nop 0
	v_cndmask_b32_e32 v8, v2, v8, vcc
	v_cmp_ne_u32_e32 vcc, 0, v6
	v_add_u32_e32 v1, s12, v1
	s_nop 0
	v_cndmask_b32_e64 v6, 0, 1, vcc
	v_lshl_or_b32 v6, v6, 9, v2
	v_cmp_eq_u32_e32 vcc, s8, v11
	s_nop 1
	v_cndmask_b32_e32 v6, v8, v6, vcc
	v_and_or_b32 v6, v7, s9, v6
	v_lshl_or_b32 v5, v6, 16, v5
	v_lshrrev_b32_e32 v6, 16, v9
	v_mul_f16_sdwa v7, v13, v6 dst_sel:DWORD dst_unused:UNUSED_PAD src0_sel:WORD_1 src1_sel:DWORD
	v_fma_f16 v7, v13, v9, v7
	v_cvt_f32_f16_e32 v7, v7
	global_store_dword v[0:1], v5, off
	v_mul_f16_sdwa v9, v13, v9 dst_sel:DWORD dst_unused:UNUSED_PAD src0_sel:WORD_1 src1_sel:DWORD
	v_fma_f16 v6, v13, v6, -v9
	v_cvt_f64_f32_e32 v[4:5], v7
	v_mul_f64 v[4:5], v[4:5], s[2:3]
	v_and_or_b32 v4, v5, s6, v4
	v_cmp_ne_u32_e32 vcc, 0, v4
	v_lshrrev_b32_e32 v7, 8, v5
	v_bfe_u32 v8, v5, 20, 11
	v_cndmask_b32_e64 v4, 0, 1, vcc
	v_and_or_b32 v4, v7, s7, v4
	v_sub_u32_e32 v10, 0x3f1, v8
	v_or_b32_e32 v7, 0x1000, v4
	v_med3_i32 v10, v10, 0, 13
	v_lshrrev_b32_e32 v11, v10, v7
	v_lshlrev_b32_e32 v10, v10, v11
	v_cmp_ne_u32_e32 vcc, v10, v7
	v_add_u32_e32 v8, 0xfffffc10, v8
	v_lshl_or_b32 v10, v8, 12, v4
	v_cndmask_b32_e64 v7, 0, 1, vcc
	v_or_b32_e32 v7, v11, v7
	v_cmp_gt_i32_e32 vcc, 1, v8
	v_cvt_f32_f16_e32 v6, v6
	s_nop 0
	v_cndmask_b32_e32 v7, v10, v7, vcc
	v_and_b32_e32 v10, 7, v7
	v_cmp_lt_i32_e32 vcc, 5, v10
	v_cmp_eq_u32_e64 s[0:1], 3, v10
	v_lshrrev_b32_e32 v7, 2, v7
	s_or_b64 vcc, s[0:1], vcc
	v_addc_co_u32_e32 v7, vcc, 0, v7, vcc
	v_cmp_gt_i32_e32 vcc, 31, v8
	s_nop 1
	v_cndmask_b32_e32 v7, v2, v7, vcc
	v_cmp_ne_u32_e32 vcc, 0, v4
	s_nop 1
	v_cndmask_b32_e64 v4, 0, 1, vcc
	v_lshl_or_b32 v4, v4, 9, v2
	v_cmp_eq_u32_e32 vcc, s8, v8
	v_and_b32_sdwa v8, v5, s9 dst_sel:DWORD dst_unused:UNUSED_PAD src0_sel:WORD_1 src1_sel:DWORD
	s_nop 0
	v_cndmask_b32_e32 v7, v7, v4, vcc
	v_cvt_f64_f32_e32 v[4:5], v6
	v_mul_f64 v[4:5], v[4:5], s[2:3]
	v_and_or_b32 v4, v5, s6, v4
	v_cmp_ne_u32_e32 vcc, 0, v4
	v_lshrrev_b32_e32 v6, 8, v5
	v_bfe_u32 v9, v5, 20, 11
	v_cndmask_b32_e64 v4, 0, 1, vcc
	v_and_or_b32 v4, v6, s7, v4
	v_sub_u32_e32 v10, 0x3f1, v9
	v_or_b32_e32 v6, 0x1000, v4
	v_med3_i32 v10, v10, 0, 13
	v_lshrrev_b32_e32 v11, v10, v6
	v_lshlrev_b32_e32 v10, v10, v11
	v_cmp_ne_u32_e32 vcc, v10, v6
	v_add_u32_e32 v9, 0xfffffc10, v9
	v_lshl_or_b32 v10, v9, 12, v4
	v_cndmask_b32_e64 v6, 0, 1, vcc
	v_or_b32_e32 v6, v11, v6
	v_cmp_gt_i32_e32 vcc, 1, v9
	s_nop 1
	v_cndmask_b32_e32 v6, v10, v6, vcc
	v_and_b32_e32 v10, 7, v6
	v_cmp_lt_i32_e32 vcc, 5, v10
	v_cmp_eq_u32_e64 s[0:1], 3, v10
	v_lshrrev_b32_e32 v6, 2, v6
	s_or_b64 vcc, s[0:1], vcc
	v_addc_co_u32_e32 v6, vcc, 0, v6, vcc
	v_cmp_gt_i32_e32 vcc, 31, v9
	v_mad_u64_u32 v[0:1], s[0:1], s4, v3, v[0:1]
	s_nop 0
	v_cndmask_b32_e32 v6, v2, v6, vcc
	v_cmp_ne_u32_e32 vcc, 0, v4
	v_add_u32_e32 v1, s11, v1
	s_nop 0
	v_cndmask_b32_e64 v4, 0, 1, vcc
	v_lshl_or_b32 v2, v4, 9, v2
	v_cmp_eq_u32_e32 vcc, s8, v9
	v_lshrrev_b32_e32 v4, 16, v5
	s_nop 0
	v_cndmask_b32_e32 v2, v6, v2, vcc
	v_and_or_b32 v2, v4, s9, v2
	v_bitop3_b32 v4, v8, s10, v7 bitop3:0xc8
	v_lshl_or_b32 v2, v2, 16, v4
	global_store_dword v[0:1], v2, off
.LBB0_10:
	s_endpgm
	.section	.rodata,"a",@progbits
	.p2align	6, 0x0
	.amdhsa_kernel bluestein_single_back_len672_dim1_half_op_CI_CI
		.amdhsa_group_segment_fixed_size 2688
		.amdhsa_private_segment_fixed_size 0
		.amdhsa_kernarg_size 104
		.amdhsa_user_sgpr_count 2
		.amdhsa_user_sgpr_dispatch_ptr 0
		.amdhsa_user_sgpr_queue_ptr 0
		.amdhsa_user_sgpr_kernarg_segment_ptr 1
		.amdhsa_user_sgpr_dispatch_id 0
		.amdhsa_user_sgpr_kernarg_preload_length 0
		.amdhsa_user_sgpr_kernarg_preload_offset 0
		.amdhsa_user_sgpr_private_segment_size 0
		.amdhsa_uses_dynamic_stack 0
		.amdhsa_enable_private_segment 0
		.amdhsa_system_sgpr_workgroup_id_x 1
		.amdhsa_system_sgpr_workgroup_id_y 0
		.amdhsa_system_sgpr_workgroup_id_z 0
		.amdhsa_system_sgpr_workgroup_info 0
		.amdhsa_system_vgpr_workitem_id 0
		.amdhsa_next_free_vgpr 126
		.amdhsa_next_free_sgpr 16
		.amdhsa_accum_offset 128
		.amdhsa_reserve_vcc 1
		.amdhsa_float_round_mode_32 0
		.amdhsa_float_round_mode_16_64 0
		.amdhsa_float_denorm_mode_32 3
		.amdhsa_float_denorm_mode_16_64 3
		.amdhsa_dx10_clamp 1
		.amdhsa_ieee_mode 1
		.amdhsa_fp16_overflow 0
		.amdhsa_tg_split 0
		.amdhsa_exception_fp_ieee_invalid_op 0
		.amdhsa_exception_fp_denorm_src 0
		.amdhsa_exception_fp_ieee_div_zero 0
		.amdhsa_exception_fp_ieee_overflow 0
		.amdhsa_exception_fp_ieee_underflow 0
		.amdhsa_exception_fp_ieee_inexact 0
		.amdhsa_exception_int_div_zero 0
	.end_amdhsa_kernel
	.text
.Lfunc_end0:
	.size	bluestein_single_back_len672_dim1_half_op_CI_CI, .Lfunc_end0-bluestein_single_back_len672_dim1_half_op_CI_CI
                                        ; -- End function
	.section	.AMDGPU.csdata,"",@progbits
; Kernel info:
; codeLenInByte = 19648
; NumSgprs: 22
; NumVgprs: 126
; NumAgprs: 0
; TotalNumVgprs: 126
; ScratchSize: 0
; MemoryBound: 0
; FloatMode: 240
; IeeeMode: 1
; LDSByteSize: 2688 bytes/workgroup (compile time only)
; SGPRBlocks: 2
; VGPRBlocks: 15
; NumSGPRsForWavesPerEU: 22
; NumVGPRsForWavesPerEU: 126
; AccumOffset: 128
; Occupancy: 4
; WaveLimiterHint : 1
; COMPUTE_PGM_RSRC2:SCRATCH_EN: 0
; COMPUTE_PGM_RSRC2:USER_SGPR: 2
; COMPUTE_PGM_RSRC2:TRAP_HANDLER: 0
; COMPUTE_PGM_RSRC2:TGID_X_EN: 1
; COMPUTE_PGM_RSRC2:TGID_Y_EN: 0
; COMPUTE_PGM_RSRC2:TGID_Z_EN: 0
; COMPUTE_PGM_RSRC2:TIDIG_COMP_CNT: 0
; COMPUTE_PGM_RSRC3_GFX90A:ACCUM_OFFSET: 31
; COMPUTE_PGM_RSRC3_GFX90A:TG_SPLIT: 0
	.text
	.p2alignl 6, 3212836864
	.fill 256, 4, 3212836864
	.type	__hip_cuid_dbca08350dbdba43,@object ; @__hip_cuid_dbca08350dbdba43
	.section	.bss,"aw",@nobits
	.globl	__hip_cuid_dbca08350dbdba43
__hip_cuid_dbca08350dbdba43:
	.byte	0                               ; 0x0
	.size	__hip_cuid_dbca08350dbdba43, 1

	.ident	"AMD clang version 19.0.0git (https://github.com/RadeonOpenCompute/llvm-project roc-6.4.0 25133 c7fe45cf4b819c5991fe208aaa96edf142730f1d)"
	.section	".note.GNU-stack","",@progbits
	.addrsig
	.addrsig_sym __hip_cuid_dbca08350dbdba43
	.amdgpu_metadata
---
amdhsa.kernels:
  - .agpr_count:     0
    .args:
      - .actual_access:  read_only
        .address_space:  global
        .offset:         0
        .size:           8
        .value_kind:     global_buffer
      - .actual_access:  read_only
        .address_space:  global
        .offset:         8
        .size:           8
        .value_kind:     global_buffer
      - .actual_access:  read_only
        .address_space:  global
        .offset:         16
        .size:           8
        .value_kind:     global_buffer
      - .actual_access:  read_only
        .address_space:  global
        .offset:         24
        .size:           8
        .value_kind:     global_buffer
      - .actual_access:  read_only
        .address_space:  global
        .offset:         32
        .size:           8
        .value_kind:     global_buffer
      - .offset:         40
        .size:           8
        .value_kind:     by_value
      - .address_space:  global
        .offset:         48
        .size:           8
        .value_kind:     global_buffer
      - .address_space:  global
        .offset:         56
        .size:           8
        .value_kind:     global_buffer
      - .address_space:  global
        .offset:         64
        .size:           8
        .value_kind:     global_buffer
      - .address_space:  global
        .offset:         72
        .size:           8
        .value_kind:     global_buffer
      - .offset:         80
        .size:           4
        .value_kind:     by_value
      - .address_space:  global
        .offset:         88
        .size:           8
        .value_kind:     global_buffer
      - .address_space:  global
        .offset:         96
        .size:           8
        .value_kind:     global_buffer
    .group_segment_fixed_size: 2688
    .kernarg_segment_align: 8
    .kernarg_segment_size: 104
    .language:       OpenCL C
    .language_version:
      - 2
      - 0
    .max_flat_workgroup_size: 56
    .name:           bluestein_single_back_len672_dim1_half_op_CI_CI
    .private_segment_fixed_size: 0
    .sgpr_count:     22
    .sgpr_spill_count: 0
    .symbol:         bluestein_single_back_len672_dim1_half_op_CI_CI.kd
    .uniform_work_group_size: 1
    .uses_dynamic_stack: false
    .vgpr_count:     126
    .vgpr_spill_count: 0
    .wavefront_size: 64
amdhsa.target:   amdgcn-amd-amdhsa--gfx950
amdhsa.version:
  - 1
  - 2
...

	.end_amdgpu_metadata
